;; amdgpu-corpus repo=ROCm/rocFFT kind=compiled arch=gfx950 opt=O3
	.text
	.amdgcn_target "amdgcn-amd-amdhsa--gfx950"
	.amdhsa_code_object_version 6
	.protected	fft_rtc_back_len408_factors_17_3_8_wgs_51_tpt_17_halfLds_half_op_CI_CI_unitstride_sbrr_R2C_dirReg ; -- Begin function fft_rtc_back_len408_factors_17_3_8_wgs_51_tpt_17_halfLds_half_op_CI_CI_unitstride_sbrr_R2C_dirReg
	.globl	fft_rtc_back_len408_factors_17_3_8_wgs_51_tpt_17_halfLds_half_op_CI_CI_unitstride_sbrr_R2C_dirReg
	.p2align	8
	.type	fft_rtc_back_len408_factors_17_3_8_wgs_51_tpt_17_halfLds_half_op_CI_CI_unitstride_sbrr_R2C_dirReg,@function
fft_rtc_back_len408_factors_17_3_8_wgs_51_tpt_17_halfLds_half_op_CI_CI_unitstride_sbrr_R2C_dirReg: ; @fft_rtc_back_len408_factors_17_3_8_wgs_51_tpt_17_halfLds_half_op_CI_CI_unitstride_sbrr_R2C_dirReg
; %bb.0:
	s_load_dwordx4 s[4:7], s[0:1], 0x58
	s_load_dwordx4 s[8:11], s[0:1], 0x0
	;; [unrolled: 1-line block ×3, first 2 shown]
	v_mul_u32_u24_e32 v1, 0xf10, v0
	v_lshrrev_b32_e32 v2, 16, v1
	v_mad_u64_u32 v[4:5], s[2:3], s2, 3, v[2:3]
	v_mov_b32_e32 v8, 0
	v_mov_b32_e32 v5, v8
	s_waitcnt lgkmcnt(0)
	v_cmp_lt_u64_e64 s[2:3], s[10:11], 2
	v_mov_b64_e32 v[10:11], 0
	s_and_b64 vcc, exec, s[2:3]
	v_mov_b64_e32 v[2:3], v[10:11]
	v_mov_b64_e32 v[6:7], v[4:5]
	s_cbranch_vccnz .LBB0_8
; %bb.1:
	s_load_dwordx2 s[2:3], s[0:1], 0x10
	s_add_u32 s16, s14, 8
	s_addc_u32 s17, s15, 0
	s_add_u32 s18, s12, 8
	s_addc_u32 s19, s13, 0
	s_waitcnt lgkmcnt(0)
	s_add_u32 s20, s2, 8
	v_mov_b64_e32 v[10:11], 0
	s_addc_u32 s21, s3, 0
	s_mov_b64 s[22:23], 1
	v_mov_b64_e32 v[2:3], v[10:11]
	v_mov_b64_e32 v[12:13], v[4:5]
.LBB0_2:                                ; =>This Inner Loop Header: Depth=1
	s_load_dwordx2 s[24:25], s[20:21], 0x0
                                        ; implicit-def: $vgpr6_vgpr7
	s_waitcnt lgkmcnt(0)
	v_or_b32_e32 v9, s25, v13
	v_cmp_ne_u64_e32 vcc, 0, v[8:9]
	s_and_saveexec_b64 s[2:3], vcc
	s_xor_b64 s[26:27], exec, s[2:3]
	s_cbranch_execz .LBB0_4
; %bb.3:                                ;   in Loop: Header=BB0_2 Depth=1
	v_cvt_f32_u32_e32 v1, s24
	v_cvt_f32_u32_e32 v5, s25
	s_sub_u32 s2, 0, s24
	s_subb_u32 s3, 0, s25
	v_fmac_f32_e32 v1, 0x4f800000, v5
	v_rcp_f32_e32 v1, v1
	s_nop 0
	v_mul_f32_e32 v1, 0x5f7ffffc, v1
	v_mul_f32_e32 v5, 0x2f800000, v1
	v_trunc_f32_e32 v5, v5
	v_fmac_f32_e32 v1, 0xcf800000, v5
	v_cvt_u32_f32_e32 v5, v5
	v_cvt_u32_f32_e32 v1, v1
	v_mul_lo_u32 v6, s2, v5
	v_mul_hi_u32 v9, s2, v1
	v_mul_lo_u32 v7, s3, v1
	v_add_u32_e32 v9, v9, v6
	v_mul_lo_u32 v16, s2, v1
	v_add_u32_e32 v9, v9, v7
	v_mul_hi_u32 v6, v1, v16
	v_mul_hi_u32 v15, v1, v9
	v_mul_lo_u32 v14, v1, v9
	v_mov_b32_e32 v7, v8
	v_lshl_add_u64 v[6:7], v[6:7], 0, v[14:15]
	v_mul_hi_u32 v15, v5, v16
	v_mul_lo_u32 v16, v5, v16
	v_add_co_u32_e32 v6, vcc, v6, v16
	v_mul_hi_u32 v14, v5, v9
	s_nop 0
	v_addc_co_u32_e32 v6, vcc, v7, v15, vcc
	v_mov_b32_e32 v7, v8
	s_nop 0
	v_addc_co_u32_e32 v15, vcc, 0, v14, vcc
	v_mul_lo_u32 v14, v5, v9
	v_lshl_add_u64 v[6:7], v[6:7], 0, v[14:15]
	v_add_co_u32_e32 v1, vcc, v1, v6
	v_mul_lo_u32 v14, s2, v1
	s_nop 0
	v_addc_co_u32_e32 v5, vcc, v5, v7, vcc
	v_mul_lo_u32 v6, s2, v5
	v_mul_hi_u32 v7, s2, v1
	v_add_u32_e32 v6, v7, v6
	v_mul_lo_u32 v7, s3, v1
	v_add_u32_e32 v9, v6, v7
	v_mul_hi_u32 v17, v5, v14
	v_mul_lo_u32 v18, v5, v14
	v_mul_hi_u32 v7, v1, v9
	v_mul_lo_u32 v6, v1, v9
	v_mul_hi_u32 v14, v1, v14
	v_mov_b32_e32 v15, v8
	v_lshl_add_u64 v[6:7], v[14:15], 0, v[6:7]
	v_add_co_u32_e32 v6, vcc, v6, v18
	v_mul_hi_u32 v16, v5, v9
	s_nop 0
	v_addc_co_u32_e32 v6, vcc, v7, v17, vcc
	v_mul_lo_u32 v14, v5, v9
	s_nop 0
	v_addc_co_u32_e32 v15, vcc, 0, v16, vcc
	v_mov_b32_e32 v7, v8
	v_lshl_add_u64 v[6:7], v[6:7], 0, v[14:15]
	v_add_co_u32_e32 v1, vcc, v1, v6
	v_mul_hi_u32 v14, v12, v1
	s_nop 0
	v_addc_co_u32_e32 v5, vcc, v5, v7, vcc
	v_mad_u64_u32 v[6:7], s[2:3], v12, v5, 0
	v_mov_b32_e32 v15, v8
	v_lshl_add_u64 v[6:7], v[14:15], 0, v[6:7]
	v_mad_u64_u32 v[16:17], s[2:3], v13, v1, 0
	v_add_co_u32_e32 v1, vcc, v6, v16
	v_mad_u64_u32 v[14:15], s[2:3], v13, v5, 0
	s_nop 0
	v_addc_co_u32_e32 v6, vcc, v7, v17, vcc
	v_mov_b32_e32 v7, v8
	s_nop 0
	v_addc_co_u32_e32 v15, vcc, 0, v15, vcc
	v_lshl_add_u64 v[6:7], v[6:7], 0, v[14:15]
	v_mul_lo_u32 v1, s25, v6
	v_mul_lo_u32 v5, s24, v7
	v_mad_u64_u32 v[14:15], s[2:3], s24, v6, 0
	v_add3_u32 v1, v15, v5, v1
	v_sub_u32_e32 v5, v13, v1
	v_mov_b32_e32 v9, s25
	v_sub_co_u32_e32 v18, vcc, v12, v14
	v_lshl_add_u64 v[16:17], v[6:7], 0, 1
	s_nop 0
	v_subb_co_u32_e64 v5, s[2:3], v5, v9, vcc
	v_subrev_co_u32_e64 v9, s[2:3], s24, v18
	v_subb_co_u32_e32 v1, vcc, v13, v1, vcc
	s_nop 0
	v_subbrev_co_u32_e64 v5, s[2:3], 0, v5, s[2:3]
	v_cmp_le_u32_e64 s[2:3], s25, v5
	v_cmp_le_u32_e32 vcc, s25, v1
	s_nop 0
	v_cndmask_b32_e64 v14, 0, -1, s[2:3]
	v_cmp_le_u32_e64 s[2:3], s24, v9
	s_nop 1
	v_cndmask_b32_e64 v9, 0, -1, s[2:3]
	v_cmp_eq_u32_e64 s[2:3], s25, v5
	s_nop 1
	v_cndmask_b32_e64 v5, v14, v9, s[2:3]
	v_lshl_add_u64 v[14:15], v[6:7], 0, 2
	v_cmp_ne_u32_e64 s[2:3], 0, v5
	v_cndmask_b32_e64 v9, 0, -1, vcc
	v_cmp_le_u32_e32 vcc, s24, v18
	v_cndmask_b32_e64 v5, v17, v15, s[2:3]
	s_nop 0
	v_cndmask_b32_e64 v15, 0, -1, vcc
	v_cmp_eq_u32_e32 vcc, s25, v1
	s_nop 1
	v_cndmask_b32_e32 v1, v9, v15, vcc
	v_cmp_ne_u32_e32 vcc, 0, v1
	v_cndmask_b32_e64 v1, v16, v14, s[2:3]
	s_nop 0
	v_cndmask_b32_e32 v7, v7, v5, vcc
	v_cndmask_b32_e32 v6, v6, v1, vcc
.LBB0_4:                                ;   in Loop: Header=BB0_2 Depth=1
	s_andn2_saveexec_b64 s[2:3], s[26:27]
	s_cbranch_execz .LBB0_6
; %bb.5:                                ;   in Loop: Header=BB0_2 Depth=1
	v_cvt_f32_u32_e32 v1, s24
	s_sub_i32 s26, 0, s24
	v_rcp_iflag_f32_e32 v1, v1
	s_nop 0
	v_mul_f32_e32 v1, 0x4f7ffffe, v1
	v_cvt_u32_f32_e32 v1, v1
	v_mul_lo_u32 v5, s26, v1
	v_mul_hi_u32 v5, v1, v5
	v_add_u32_e32 v1, v1, v5
	v_mul_hi_u32 v1, v12, v1
	v_mul_lo_u32 v5, v1, s24
	v_sub_u32_e32 v5, v12, v5
	v_add_u32_e32 v6, 1, v1
	v_subrev_u32_e32 v7, s24, v5
	v_cmp_le_u32_e32 vcc, s24, v5
	s_nop 1
	v_cndmask_b32_e32 v5, v5, v7, vcc
	v_cndmask_b32_e32 v1, v1, v6, vcc
	v_add_u32_e32 v6, 1, v1
	v_cmp_le_u32_e32 vcc, s24, v5
	v_mov_b32_e32 v7, v8
	s_nop 0
	v_cndmask_b32_e32 v6, v1, v6, vcc
.LBB0_6:                                ;   in Loop: Header=BB0_2 Depth=1
	s_or_b64 exec, exec, s[2:3]
	v_mad_u64_u32 v[14:15], s[2:3], v6, s24, 0
	s_load_dwordx2 s[2:3], s[18:19], 0x0
	s_add_u32 s22, s22, 1
	v_mul_lo_u32 v1, v7, s24
	v_mul_lo_u32 v5, v6, s25
	s_load_dwordx2 s[24:25], s[16:17], 0x0
	s_addc_u32 s23, s23, 0
	v_add3_u32 v1, v15, v5, v1
	v_sub_co_u32_e32 v5, vcc, v12, v14
	s_add_u32 s16, s16, 8
	s_nop 0
	v_subb_co_u32_e32 v1, vcc, v13, v1, vcc
	s_addc_u32 s17, s17, 0
	s_waitcnt lgkmcnt(0)
	v_mul_lo_u32 v9, s2, v1
	v_mul_lo_u32 v12, s3, v5
	v_mad_u64_u32 v[10:11], s[2:3], s2, v5, v[10:11]
	s_add_u32 s18, s18, 8
	v_add3_u32 v11, v12, v11, v9
	s_addc_u32 s19, s19, 0
	v_mov_b64_e32 v[12:13], s[10:11]
	v_mul_lo_u32 v1, s24, v1
	v_mul_lo_u32 v9, s25, v5
	v_mad_u64_u32 v[2:3], s[2:3], s24, v5, v[2:3]
	s_add_u32 s20, s20, 8
	v_cmp_ge_u64_e32 vcc, s[22:23], v[12:13]
	v_add3_u32 v3, v9, v3, v1
	s_addc_u32 s21, s21, 0
	s_cbranch_vccnz .LBB0_8
; %bb.7:                                ;   in Loop: Header=BB0_2 Depth=1
	v_mov_b64_e32 v[12:13], v[6:7]
	s_branch .LBB0_2
.LBB0_8:
	s_load_dwordx2 s[0:1], s[0:1], 0x28
	s_lshl_b64 s[10:11], s[10:11], 3
	s_add_u32 s2, s14, s10
	s_mov_b32 s14, 0xaaaaaaab
	v_mul_hi_u32 v1, v4, s14
	v_lshrrev_b32_e32 v1, 1, v1
	v_lshl_add_u32 v1, v1, 1, v1
	s_addc_u32 s3, s15, s11
	v_sub_u32_e32 v1, v4, v1
	s_waitcnt lgkmcnt(0)
	v_cmp_gt_u64_e32 vcc, s[0:1], v[6:7]
	v_cmp_le_u64_e64 s[0:1], s[0:1], v[6:7]
                                        ; implicit-def: $vgpr4
                                        ; implicit-def: $vgpr8
	s_and_saveexec_b64 s[14:15], s[0:1]
	s_xor_b64 s[0:1], exec, s[14:15]
; %bb.9:
	s_mov_b32 s14, 0xf0f0f10
	v_mul_hi_u32 v4, v0, s14
	v_mul_u32_u24_e32 v4, 17, v4
	v_sub_u32_e32 v4, v0, v4
	v_add_u32_e32 v8, 17, v4
                                        ; implicit-def: $vgpr0
                                        ; implicit-def: $vgpr10_vgpr11
; %bb.10:
	s_or_saveexec_b64 s[0:1], s[0:1]
	v_mul_u32_u24_e32 v1, 0x199, v1
	v_lshlrev_b32_e32 v43, 2, v1
	s_xor_b64 exec, exec, s[0:1]
	s_cbranch_execz .LBB0_12
; %bb.11:
	s_add_u32 s10, s12, s10
	s_addc_u32 s11, s13, s11
	s_load_dwordx2 s[10:11], s[10:11], 0x0
	s_mov_b32 s12, 0xf0f0f10
	s_waitcnt lgkmcnt(0)
	v_mul_lo_u32 v1, s11, v6
	v_mul_lo_u32 v4, s10, v7
	v_mad_u64_u32 v[8:9], s[10:11], s10, v6, 0
	v_add3_u32 v9, v9, v4, v1
	v_mul_hi_u32 v1, v0, s12
	v_mul_u32_u24_e32 v1, 17, v1
	v_sub_u32_e32 v4, v0, v1
	v_lshl_add_u64 v[0:1], v[8:9], 2, s[4:5]
	v_lshl_add_u64 v[0:1], v[10:11], 2, v[0:1]
	v_lshlrev_b32_e32 v10, 2, v4
	v_mov_b32_e32 v11, 0
	v_lshl_add_u64 v[0:1], v[0:1], 0, v[10:11]
	global_load_dword v5, v[0:1], off
	global_load_dword v9, v[0:1], off offset:68
	global_load_dword v11, v[0:1], off offset:136
	;; [unrolled: 1-line block ×23, first 2 shown]
	v_add_u32_e32 v8, 17, v4
	v_add3_u32 v0, 0, v43, v10
	v_add_u32_e32 v1, 0x400, v0
	s_waitcnt vmcnt(22)
	ds_write2_b32 v0, v5, v9 offset1:17
	s_waitcnt vmcnt(20)
	ds_write2_b32 v0, v11, v12 offset0:34 offset1:51
	s_waitcnt vmcnt(18)
	ds_write2_b32 v0, v13, v14 offset0:68 offset1:85
	;; [unrolled: 2-line block ×11, first 2 shown]
.LBB0_12:
	s_or_b64 exec, exec, s[0:1]
	v_lshlrev_b32_e32 v5, 2, v4
	v_add_u32_e32 v0, 0, v5
	v_add_u32_e32 v9, v0, v43
	s_load_dwordx2 s[2:3], s[2:3], 0x0
	s_waitcnt lgkmcnt(0)
	; wave barrier
	s_waitcnt lgkmcnt(0)
	ds_read2_b32 v[0:1], v9 offset0:17 offset1:24
	v_add_u32_e32 v40, 0, v43
	v_add_u32_e32 v42, 0x400, v9
	;; [unrolled: 1-line block ×3, first 2 shown]
	ds_read2_b32 v[10:11], v42 offset0:121 offset1:128
	ds_read2_b32 v[36:37], v9 offset0:41 offset1:48
	;; [unrolled: 1-line block ×13, first 2 shown]
	ds_read_b32 v44, v9 offset:1604
	ds_read_b32 v47, v41
	ds_read2_b32 v[18:19], v42 offset0:73 offset1:80
	ds_read2_b32 v[12:13], v42 offset0:97 offset1:104
	s_waitcnt lgkmcnt(14)
	v_pk_add_f16 v48, v11, v1
	s_movk_i32 s10, 0x3b76
	s_movk_i32 s11, 0x39e9
	;; [unrolled: 1-line block ×4, first 2 shown]
	s_mov_b32 s19, 0xb461
	s_mov_b32 s22, 0xb8d2
	;; [unrolled: 1-line block ×3, first 2 shown]
	s_waitcnt lgkmcnt(2)
	v_pk_add_f16 v46, v47, v1
	v_pk_add_f16 v1, v1, v11 neg_lo:[0,1] neg_hi:[0,1]
	s_mov_b32 s17, 0xb5c8
	v_mul_f16_sdwa v51, v48, s10 dst_sel:DWORD dst_unused:UNUSED_PAD src0_sel:WORD_1 src1_sel:DWORD
	s_movk_i32 s12, 0x35c8
	s_mov_b32 s21, 0xb964
	v_mul_f16_sdwa v55, v48, s11 dst_sel:DWORD dst_unused:UNUSED_PAD src0_sel:WORD_1 src1_sel:DWORD
	s_movk_i32 s14, 0x3964
	;; [unrolled: 3-line block ×7, first 2 shown]
	s_mov_b32 s28, 0xb1e1
	v_mul_f16_sdwa v49, v1, s17 dst_sel:DWORD dst_unused:UNUSED_PAD src0_sel:WORD_1 src1_sel:DWORD
	v_fma_f16 v52, v1, s12, v51
	v_fma_f16 v51, v1, s17, v51
	v_mul_f16_sdwa v53, v1, s21 dst_sel:DWORD dst_unused:UNUSED_PAD src0_sel:WORD_1 src1_sel:DWORD
	v_fma_f16 v56, v1, s14, v55
	v_fma_f16 v55, v1, s21, v55
	;; [unrolled: 3-line block ×7, first 2 shown]
	v_pk_mul_f16 v1, v1, s28 op_sel_hi:[1,0]
	s_mov_b32 s27, 0xbbdd
	v_fma_f16 v50, v48, s10, v49
	v_fma_f16 v49, v48, s10, -v49
	v_fma_f16 v54, v48, s11, v53
	v_fma_f16 v53, v48, s11, -v53
	;; [unrolled: 2-line block ×7, first 2 shown]
	v_pk_fma_f16 v77, v48, s27, v1 op_sel:[0,0,1] op_sel_hi:[1,0,0]
	v_pk_fma_f16 v1, v48, s27, v1 op_sel:[0,0,1] op_sel_hi:[1,0,0] neg_lo:[0,0,1] neg_hi:[0,0,1]
	v_pk_add_f16 v46, v46, v37
	v_add_f16_e32 v50, v47, v50
	v_add_f16_sdwa v52, v47, v52 dst_sel:DWORD dst_unused:UNUSED_PAD src0_sel:WORD_1 src1_sel:DWORD
	v_add_f16_e32 v49, v47, v49
	v_add_f16_sdwa v51, v47, v51 dst_sel:DWORD dst_unused:UNUSED_PAD src0_sel:WORD_1 src1_sel:DWORD
	;; [unrolled: 2-line block ×14, first 2 shown]
	v_pk_add_f16 v77, v47, v77
	v_pk_add_f16 v1, v47, v1
	s_waitcnt lgkmcnt(0)
	v_pk_add_f16 v47, v13, v37
	v_pk_add_f16 v37, v37, v13 neg_lo:[0,1] neg_hi:[0,1]
	s_movk_i32 s34, 0x31e1
	v_mul_f16_sdwa v48, v37, s21 dst_sel:DWORD dst_unused:UNUSED_PAD src0_sel:WORD_1 src1_sel:DWORD
	v_fma_f16 v78, v47, s11, v48
	v_add_f16_e32 v50, v78, v50
	v_mul_f16_sdwa v78, v47, s11 dst_sel:DWORD dst_unused:UNUSED_PAD src0_sel:WORD_1 src1_sel:DWORD
	v_fma_f16 v48, v47, s11, -v48
	v_add_f16_e32 v48, v48, v49
	v_fma_f16 v49, v37, s21, v78
	v_add_f16_e32 v49, v49, v51
	v_mul_f16_sdwa v51, v37, s29 dst_sel:DWORD dst_unused:UNUSED_PAD src0_sel:WORD_1 src1_sel:DWORD
	v_fma_f16 v79, v37, s14, v78
	v_fma_f16 v78, v47, s15, v51
	v_add_f16_e32 v54, v78, v54
	v_mul_f16_sdwa v78, v47, s15 dst_sel:DWORD dst_unused:UNUSED_PAD src0_sel:WORD_1 src1_sel:DWORD
	v_fma_f16 v51, v47, s15, -v51
	v_add_f16_e32 v51, v51, v53
	v_fma_f16 v53, v37, s29, v78
	v_add_f16_e32 v53, v53, v55
	v_mul_f16_sdwa v55, v37, s23 dst_sel:DWORD dst_unused:UNUSED_PAD src0_sel:WORD_1 src1_sel:DWORD
	v_add_f16_e32 v52, v79, v52
	v_fma_f16 v79, v37, s18, v78
	v_fma_f16 v78, v47, s22, v55
	v_add_f16_e32 v58, v78, v58
	v_mul_f16_sdwa v78, v47, s22 dst_sel:DWORD dst_unused:UNUSED_PAD src0_sel:WORD_1 src1_sel:DWORD
	v_fma_f16 v55, v47, s22, -v55
	v_add_f16_e32 v55, v55, v57
	v_fma_f16 v57, v37, s23, v78
	v_add_f16_e32 v57, v57, v59
	v_mul_f16_sdwa v59, v37, s28 dst_sel:DWORD dst_unused:UNUSED_PAD src0_sel:WORD_1 src1_sel:DWORD
	v_add_f16_e32 v56, v79, v56
	;; [unrolled: 10-line block ×5, first 2 shown]
	v_fma_f16 v79, v37, s20, v78
	v_fma_f16 v78, v47, s13, v71
	v_add_f16_e32 v74, v78, v74
	v_mul_f16_sdwa v78, v47, s13 dst_sel:DWORD dst_unused:UNUSED_PAD src0_sel:WORD_1 src1_sel:DWORD
	v_fma_f16 v71, v47, s13, -v71
	v_add_f16_e32 v72, v79, v72
	v_fma_f16 v79, v37, s25, v78
	v_add_f16_e32 v71, v71, v73
	v_fma_f16 v73, v37, s16, v78
	v_pk_mul_f16 v37, v37, s12 op_sel_hi:[1,0]
	v_add_f16_e32 v73, v73, v75
	v_pk_fma_f16 v75, v47, s10, v37 op_sel:[0,0,1] op_sel_hi:[1,0,0]
	v_pk_fma_f16 v37, v47, s10, v37 op_sel:[0,0,1] op_sel_hi:[1,0,0] neg_lo:[0,0,1] neg_hi:[0,0,1]
	v_pk_add_f16 v46, v46, v39
	v_pk_add_f16 v1, v37, v1
	;; [unrolled: 1-line block ×3, first 2 shown]
	v_pk_add_f16 v39, v39, v19 neg_lo:[0,1] neg_hi:[0,1]
	v_pk_add_f16 v75, v75, v77
	v_mul_f16_sdwa v47, v39, s25 dst_sel:DWORD dst_unused:UNUSED_PAD src0_sel:WORD_1 src1_sel:DWORD
	v_fma_f16 v77, v37, s13, v47
	v_add_f16_e32 v50, v77, v50
	v_mul_f16_sdwa v77, v37, s13 dst_sel:DWORD dst_unused:UNUSED_PAD src0_sel:WORD_1 src1_sel:DWORD
	v_fma_f16 v47, v37, s13, -v47
	v_add_f16_e32 v47, v47, v48
	v_fma_f16 v48, v39, s25, v77
	v_add_f16_e32 v48, v48, v49
	v_mul_f16_sdwa v49, v39, s23 dst_sel:DWORD dst_unused:UNUSED_PAD src0_sel:WORD_1 src1_sel:DWORD
	v_fma_f16 v78, v39, s16, v77
	v_fma_f16 v77, v37, s22, v49
	v_add_f16_e32 v54, v77, v54
	v_mul_f16_sdwa v77, v37, s22 dst_sel:DWORD dst_unused:UNUSED_PAD src0_sel:WORD_1 src1_sel:DWORD
	v_fma_f16 v49, v37, s22, -v49
	v_add_f16_e32 v49, v49, v51
	v_fma_f16 v51, v39, s23, v77
	v_add_f16_e32 v51, v51, v53
	v_mul_f16_sdwa v53, v39, s34 dst_sel:DWORD dst_unused:UNUSED_PAD src0_sel:WORD_1 src1_sel:DWORD
	v_add_f16_e32 v52, v78, v52
	v_fma_f16 v78, v39, s31, v77
	v_fma_f16 v77, v37, s27, v53
	v_add_f16_e32 v58, v77, v58
	v_mul_f16_sdwa v77, v37, s27 dst_sel:DWORD dst_unused:UNUSED_PAD src0_sel:WORD_1 src1_sel:DWORD
	v_fma_f16 v53, v37, s27, -v53
	v_add_f16_e32 v53, v53, v55
	v_fma_f16 v55, v39, s34, v77
	v_add_f16_e32 v55, v55, v57
	v_mul_f16_sdwa v57, v39, s30 dst_sel:DWORD dst_unused:UNUSED_PAD src0_sel:WORD_1 src1_sel:DWORD
	v_add_f16_e32 v56, v78, v56
	;; [unrolled: 10-line block ×5, first 2 shown]
	v_fma_f16 v78, v39, s12, v77
	v_fma_f16 v77, v37, s15, v69
	v_add_f16_e32 v74, v77, v74
	v_mul_f16_sdwa v77, v37, s15 dst_sel:DWORD dst_unused:UNUSED_PAD src0_sel:WORD_1 src1_sel:DWORD
	v_fma_f16 v69, v37, s15, -v69
	v_add_f16_e32 v72, v78, v72
	v_fma_f16 v78, v39, s18, v77
	v_add_f16_e32 v69, v69, v71
	v_fma_f16 v71, v39, s29, v77
	v_pk_mul_f16 v39, v39, s26 op_sel_hi:[1,0]
	v_add_f16_e32 v71, v71, v73
	v_pk_fma_f16 v73, v37, s24, v39 op_sel:[0,0,1] op_sel_hi:[1,0,0]
	v_pk_fma_f16 v37, v37, s24, v39 op_sel:[0,0,1] op_sel_hi:[1,0,0] neg_lo:[0,0,1] neg_hi:[0,0,1]
	v_pk_add_f16 v46, v46, v35
	v_pk_add_f16 v1, v37, v1
	;; [unrolled: 1-line block ×3, first 2 shown]
	v_pk_add_f16 v35, v35, v21 neg_lo:[0,1] neg_hi:[0,1]
	v_pk_add_f16 v73, v73, v75
	v_mul_f16_sdwa v39, v35, s29 dst_sel:DWORD dst_unused:UNUSED_PAD src0_sel:WORD_1 src1_sel:DWORD
	v_fma_f16 v75, v37, s15, v39
	v_add_f16_e32 v50, v75, v50
	v_mul_f16_sdwa v75, v37, s15 dst_sel:DWORD dst_unused:UNUSED_PAD src0_sel:WORD_1 src1_sel:DWORD
	v_fma_f16 v39, v37, s15, -v39
	v_add_f16_e32 v39, v39, v47
	v_fma_f16 v47, v35, s29, v75
	v_add_f16_e32 v47, v47, v48
	v_mul_f16_sdwa v48, v35, s28 dst_sel:DWORD dst_unused:UNUSED_PAD src0_sel:WORD_1 src1_sel:DWORD
	v_fma_f16 v77, v35, s18, v75
	v_fma_f16 v75, v37, s27, v48
	v_add_f16_e32 v54, v75, v54
	v_mul_f16_sdwa v75, v37, s27 dst_sel:DWORD dst_unused:UNUSED_PAD src0_sel:WORD_1 src1_sel:DWORD
	v_fma_f16 v48, v37, s27, -v48
	v_add_f16_e32 v48, v48, v49
	v_fma_f16 v49, v35, s28, v75
	v_add_f16_e32 v49, v49, v51
	v_mul_f16_sdwa v51, v35, s30 dst_sel:DWORD dst_unused:UNUSED_PAD src0_sel:WORD_1 src1_sel:DWORD
	v_add_f16_e32 v52, v77, v52
	v_fma_f16 v77, v35, s34, v75
	v_fma_f16 v75, v37, s19, v51
	v_add_f16_e32 v58, v75, v58
	v_mul_f16_sdwa v75, v37, s19 dst_sel:DWORD dst_unused:UNUSED_PAD src0_sel:WORD_1 src1_sel:DWORD
	v_fma_f16 v51, v37, s19, -v51
	v_add_f16_e32 v51, v51, v53
	v_fma_f16 v53, v35, s30, v75
	v_add_f16_e32 v53, v53, v55
	v_mul_f16_sdwa v55, v35, s12 dst_sel:DWORD dst_unused:UNUSED_PAD src0_sel:WORD_1 src1_sel:DWORD
	v_add_f16_e32 v56, v77, v56
	v_fma_f16 v77, v35, s20, v75
	v_fma_f16 v75, v37, s10, v55
	v_add_f16_e32 v62, v75, v62
	v_mul_f16_sdwa v75, v37, s10 dst_sel:DWORD dst_unused:UNUSED_PAD src0_sel:WORD_1 src1_sel:DWORD
	v_fma_f16 v55, v37, s10, -v55
	v_add_f16_e32 v55, v55, v57
	v_fma_f16 v57, v35, s12, v75
	v_add_f16_e32 v57, v57, v59
	v_mul_f16_sdwa v59, v35, s25 dst_sel:DWORD dst_unused:UNUSED_PAD src0_sel:WORD_1 src1_sel:DWORD
	v_add_f16_e32 v60, v77, v60
	v_fma_f16 v77, v35, s17, v75
	v_fma_f16 v75, v37, s13, v59
	v_add_f16_e32 v66, v75, v66
	v_mul_f16_sdwa v75, v37, s13 dst_sel:DWORD dst_unused:UNUSED_PAD src0_sel:WORD_1 src1_sel:DWORD
	v_fma_f16 v59, v37, s13, -v59
	v_add_f16_e32 v59, v59, v61
	v_fma_f16 v61, v35, s25, v75
	v_add_f16_e32 v61, v61, v63
	v_mul_f16_sdwa v63, v35, s26 dst_sel:DWORD dst_unused:UNUSED_PAD src0_sel:WORD_1 src1_sel:DWORD
	v_add_f16_e32 v64, v77, v64
	v_fma_f16 v77, v35, s16, v75
	v_fma_f16 v75, v37, s24, v63
	v_pk_add_f16 v46, v46, v33
	v_add_f16_e32 v70, v75, v70
	v_mul_f16_sdwa v75, v37, s24 dst_sel:DWORD dst_unused:UNUSED_PAD src0_sel:WORD_1 src1_sel:DWORD
	v_fma_f16 v63, v37, s24, -v63
	v_pk_add_f16 v46, v46, v31
	v_add_f16_e32 v63, v63, v65
	v_fma_f16 v65, v35, s26, v75
	v_pk_add_f16 v46, v46, v29
	v_add_f16_e32 v65, v65, v67
	v_mul_f16_sdwa v67, v35, s31 dst_sel:DWORD dst_unused:UNUSED_PAD src0_sel:WORD_1 src1_sel:DWORD
	v_pk_add_f16 v46, v46, v27
	v_add_f16_e32 v68, v77, v68
	v_fma_f16 v77, v35, s33, v75
	v_fma_f16 v75, v37, s22, v67
	v_pk_add_f16 v46, v46, v15
	v_add_f16_e32 v74, v75, v74
	v_mul_f16_sdwa v75, v37, s22 dst_sel:DWORD dst_unused:UNUSED_PAD src0_sel:WORD_1 src1_sel:DWORD
	v_fma_f16 v67, v37, s22, -v67
	v_pk_add_f16 v46, v46, v17
	v_add_f16_e32 v72, v77, v72
	v_fma_f16 v77, v35, s23, v75
	v_add_f16_e32 v67, v67, v69
	v_fma_f16 v69, v35, s31, v75
	v_pk_mul_f16 v35, v35, s14 op_sel_hi:[1,0]
	v_pk_add_f16 v46, v46, v25
	v_add_f16_e32 v69, v69, v71
	v_pk_fma_f16 v71, v37, s11, v35 op_sel:[0,0,1] op_sel_hi:[1,0,0]
	v_pk_fma_f16 v35, v37, s11, v35 op_sel:[0,0,1] op_sel_hi:[1,0,0] neg_lo:[0,0,1] neg_hi:[0,0,1]
	v_pk_add_f16 v46, v46, v23
	v_pk_add_f16 v1, v35, v1
	v_pk_add_f16 v35, v23, v33
	v_pk_add_f16 v23, v33, v23 neg_lo:[0,1] neg_hi:[0,1]
	v_pk_add_f16 v71, v71, v73
	v_mul_f16_sdwa v33, v23, s20 dst_sel:DWORD dst_unused:UNUSED_PAD src0_sel:WORD_1 src1_sel:DWORD
	v_fma_f16 v37, v35, s19, v33
	v_add_f16_e32 v37, v37, v50
	v_mul_f16_sdwa v50, v35, s19 dst_sel:DWORD dst_unused:UNUSED_PAD src0_sel:WORD_1 src1_sel:DWORD
	v_fma_f16 v33, v35, s19, -v33
	v_add_f16_e32 v33, v33, v39
	v_fma_f16 v39, v23, s20, v50
	v_add_f16_e32 v39, v39, v47
	v_mul_f16_sdwa v47, v23, s33 dst_sel:DWORD dst_unused:UNUSED_PAD src0_sel:WORD_1 src1_sel:DWORD
	v_fma_f16 v73, v23, s30, v50
	v_fma_f16 v50, v35, s24, v47
	v_add_f16_e32 v50, v50, v54
	v_mul_f16_sdwa v54, v35, s24 dst_sel:DWORD dst_unused:UNUSED_PAD src0_sel:WORD_1 src1_sel:DWORD
	v_fma_f16 v47, v35, s24, -v47
	v_add_f16_e32 v47, v47, v48
	v_fma_f16 v48, v23, s33, v54
	v_add_f16_e32 v48, v48, v49
	v_mul_f16_sdwa v49, v23, s14 dst_sel:DWORD dst_unused:UNUSED_PAD src0_sel:WORD_1 src1_sel:DWORD
	v_add_f16_e32 v52, v73, v52
	v_fma_f16 v73, v23, s26, v54
	v_fma_f16 v54, v35, s11, v49
	v_add_f16_e32 v54, v54, v58
	v_mul_f16_sdwa v58, v35, s11 dst_sel:DWORD dst_unused:UNUSED_PAD src0_sel:WORD_1 src1_sel:DWORD
	v_fma_f16 v49, v35, s11, -v49
	v_add_f16_e32 v49, v49, v51
	v_fma_f16 v51, v23, s14, v58
	v_add_f16_e32 v51, v51, v53
	v_mul_f16_sdwa v53, v23, s25 dst_sel:DWORD dst_unused:UNUSED_PAD src0_sel:WORD_1 src1_sel:DWORD
	v_add_f16_e32 v56, v73, v56
	;; [unrolled: 10-line block ×4, first 2 shown]
	v_fma_f16 v73, v23, s34, v66
	v_fma_f16 v66, v35, s15, v61
	v_add_f16_e32 v66, v66, v70
	v_mul_f16_sdwa v70, v35, s15 dst_sel:DWORD dst_unused:UNUSED_PAD src0_sel:WORD_1 src1_sel:DWORD
	v_fma_f16 v61, v35, s15, -v61
	v_add_f16_e32 v61, v61, v63
	v_fma_f16 v63, v23, s18, v70
	v_add_f16_e32 v68, v73, v68
	v_fma_f16 v73, v23, s29, v70
	v_add_f16_e32 v63, v63, v65
	v_mul_f16_sdwa v65, v23, s17 dst_sel:DWORD dst_unused:UNUSED_PAD src0_sel:WORD_1 src1_sel:DWORD
	v_add_f16_e32 v72, v73, v72
	v_fma_f16 v70, v35, s10, v65
	v_mul_f16_sdwa v73, v35, s10 dst_sel:DWORD dst_unused:UNUSED_PAD src0_sel:WORD_1 src1_sel:DWORD
	v_fma_f16 v65, v35, s10, -v65
	v_add_f16_e32 v70, v70, v74
	v_fma_f16 v74, v23, s12, v73
	v_add_f16_e32 v65, v65, v67
	v_fma_f16 v67, v23, s17, v73
	v_pk_mul_f16 v23, v23, s23 op_sel_hi:[1,0]
	v_add_f16_e32 v67, v67, v69
	v_pk_fma_f16 v69, v35, s22, v23 op_sel:[0,0,1] op_sel_hi:[1,0,0]
	v_pk_fma_f16 v23, v35, s22, v23 op_sel:[0,0,1] op_sel_hi:[1,0,0] neg_lo:[0,0,1] neg_hi:[0,0,1]
	v_pk_add_f16 v69, v69, v71
	v_pk_add_f16 v1, v23, v1
	;; [unrolled: 1-line block ×3, first 2 shown]
	v_pk_add_f16 v25, v31, v25 neg_lo:[0,1] neg_hi:[0,1]
	v_add_f16_e32 v76, v79, v76
	v_mul_f16_sdwa v31, v25, s23 dst_sel:DWORD dst_unused:UNUSED_PAD src0_sel:WORD_1 src1_sel:DWORD
	v_fma_f16 v35, v23, s22, v31
	v_add_f16_e32 v35, v35, v37
	v_mul_f16_sdwa v37, v23, s22 dst_sel:DWORD dst_unused:UNUSED_PAD src0_sel:WORD_1 src1_sel:DWORD
	v_fma_f16 v31, v23, s22, -v31
	v_fma_f16 v71, v25, s31, v37
	v_add_f16_e32 v31, v31, v33
	v_fma_f16 v33, v25, s23, v37
	v_mul_f16_sdwa v37, v25, s30 dst_sel:DWORD dst_unused:UNUSED_PAD src0_sel:WORD_1 src1_sel:DWORD
	v_add_f16_e32 v33, v33, v39
	v_fma_f16 v39, v23, s19, v37
	v_add_f16_e32 v39, v39, v50
	v_mul_f16_sdwa v50, v23, s19 dst_sel:DWORD dst_unused:UNUSED_PAD src0_sel:WORD_1 src1_sel:DWORD
	v_fma_f16 v37, v23, s19, -v37
	v_add_f16_e32 v37, v37, v47
	v_fma_f16 v47, v25, s30, v50
	v_add_f16_e32 v47, v47, v48
	v_mul_f16_sdwa v48, v25, s17 dst_sel:DWORD dst_unused:UNUSED_PAD src0_sel:WORD_1 src1_sel:DWORD
	v_add_f16_e32 v52, v71, v52
	v_fma_f16 v71, v25, s20, v50
	v_fma_f16 v50, v23, s10, v48
	v_add_f16_e32 v50, v50, v54
	v_mul_f16_sdwa v54, v23, s10 dst_sel:DWORD dst_unused:UNUSED_PAD src0_sel:WORD_1 src1_sel:DWORD
	v_fma_f16 v48, v23, s10, -v48
	v_add_f16_e32 v48, v48, v49
	v_fma_f16 v49, v25, s17, v54
	v_add_f16_e32 v49, v49, v51
	v_mul_f16_sdwa v51, v25, s26 dst_sel:DWORD dst_unused:UNUSED_PAD src0_sel:WORD_1 src1_sel:DWORD
	v_add_f16_e32 v56, v71, v56
	v_fma_f16 v71, v25, s12, v54
	;; [unrolled: 10-line block ×5, first 2 shown]
	v_fma_f16 v66, v23, s27, v63
	v_add_f16_e32 v66, v66, v70
	v_mul_f16_sdwa v70, v23, s27 dst_sel:DWORD dst_unused:UNUSED_PAD src0_sel:WORD_1 src1_sel:DWORD
	v_fma_f16 v63, v23, s27, -v63
	v_add_f16_e32 v71, v71, v72
	v_fma_f16 v72, v25, s34, v70
	v_add_f16_e32 v63, v63, v65
	v_fma_f16 v65, v25, s28, v70
	v_pk_mul_f16 v25, v25, s16 op_sel_hi:[1,0]
	v_add_f16_e32 v65, v65, v67
	v_pk_fma_f16 v67, v23, s13, v25 op_sel:[0,0,1] op_sel_hi:[1,0,0]
	v_pk_fma_f16 v23, v23, s13, v25 op_sel:[0,0,1] op_sel_hi:[1,0,0] neg_lo:[0,0,1] neg_hi:[0,0,1]
	v_pk_add_f16 v67, v67, v69
	v_pk_add_f16 v1, v23, v1
	;; [unrolled: 1-line block ×3, first 2 shown]
	v_pk_add_f16 v17, v29, v17 neg_lo:[0,1] neg_hi:[0,1]
	v_add_f16_e32 v76, v78, v76
	v_mul_f16_sdwa v25, v17, s26 dst_sel:DWORD dst_unused:UNUSED_PAD src0_sel:WORD_1 src1_sel:DWORD
	v_fma_f16 v29, v23, s24, v25
	v_add_f16_e32 v29, v29, v35
	v_mul_f16_sdwa v35, v23, s24 dst_sel:DWORD dst_unused:UNUSED_PAD src0_sel:WORD_1 src1_sel:DWORD
	v_fma_f16 v25, v23, s24, -v25
	v_add_f16_e32 v25, v25, v31
	v_fma_f16 v31, v17, s26, v35
	v_add_f16_e32 v31, v31, v33
	v_mul_f16_sdwa v33, v17, s16 dst_sel:DWORD dst_unused:UNUSED_PAD src0_sel:WORD_1 src1_sel:DWORD
	v_fma_f16 v69, v17, s33, v35
	v_fma_f16 v35, v23, s13, v33
	v_add_f16_e32 v35, v35, v39
	v_mul_f16_sdwa v39, v23, s13 dst_sel:DWORD dst_unused:UNUSED_PAD src0_sel:WORD_1 src1_sel:DWORD
	v_fma_f16 v33, v23, s13, -v33
	v_add_f16_e32 v52, v69, v52
	v_fma_f16 v69, v17, s25, v39
	v_add_f16_e32 v33, v33, v37
	v_fma_f16 v37, v17, s16, v39
	v_mul_f16_sdwa v39, v17, s29 dst_sel:DWORD dst_unused:UNUSED_PAD src0_sel:WORD_1 src1_sel:DWORD
	v_add_f16_e32 v37, v37, v47
	v_fma_f16 v47, v23, s15, v39
	v_add_f16_e32 v47, v47, v50
	v_mul_f16_sdwa v50, v23, s15 dst_sel:DWORD dst_unused:UNUSED_PAD src0_sel:WORD_1 src1_sel:DWORD
	v_fma_f16 v39, v23, s15, -v39
	v_add_f16_e32 v39, v39, v48
	v_fma_f16 v48, v17, s29, v50
	v_add_f16_e32 v48, v48, v49
	v_mul_f16_sdwa v49, v17, s31 dst_sel:DWORD dst_unused:UNUSED_PAD src0_sel:WORD_1 src1_sel:DWORD
	v_add_f16_e32 v56, v69, v56
	v_fma_f16 v69, v17, s18, v50
	v_fma_f16 v50, v23, s22, v49
	v_add_f16_e32 v50, v50, v54
	v_mul_f16_sdwa v54, v23, s22 dst_sel:DWORD dst_unused:UNUSED_PAD src0_sel:WORD_1 src1_sel:DWORD
	v_fma_f16 v49, v23, s22, -v49
	v_add_f16_e32 v49, v49, v51
	v_fma_f16 v51, v17, s31, v54
	v_add_f16_e32 v51, v51, v53
	v_mul_f16_sdwa v53, v17, s17 dst_sel:DWORD dst_unused:UNUSED_PAD src0_sel:WORD_1 src1_sel:DWORD
	v_add_f16_e32 v60, v69, v60
	v_fma_f16 v69, v17, s23, v54
	v_fma_f16 v54, v23, s10, v53
	v_add_f16_e32 v54, v54, v58
	v_mul_f16_sdwa v58, v23, s10 dst_sel:DWORD dst_unused:UNUSED_PAD src0_sel:WORD_1 src1_sel:DWORD
	v_fma_f16 v53, v23, s10, -v53
	v_add_f16_e32 v53, v53, v55
	v_fma_f16 v55, v17, s17, v58
	v_add_f16_e32 v55, v55, v57
	v_mul_f16_sdwa v57, v17, s28 dst_sel:DWORD dst_unused:UNUSED_PAD src0_sel:WORD_1 src1_sel:DWORD
	v_add_f16_e32 v64, v69, v64
	v_fma_f16 v69, v17, s12, v58
	v_fma_f16 v58, v23, s27, v57
	v_add_f16_e32 v58, v58, v62
	v_mul_f16_sdwa v62, v23, s27 dst_sel:DWORD dst_unused:UNUSED_PAD src0_sel:WORD_1 src1_sel:DWORD
	v_fma_f16 v57, v23, s27, -v57
	v_add_f16_e32 v57, v57, v59
	v_fma_f16 v59, v17, s28, v62
	v_add_f16_e32 v59, v59, v61
	v_mul_f16_sdwa v61, v17, s14 dst_sel:DWORD dst_unused:UNUSED_PAD src0_sel:WORD_1 src1_sel:DWORD
	v_add_f16_e32 v68, v69, v68
	v_fma_f16 v69, v17, s34, v62
	v_fma_f16 v62, v23, s11, v61
	v_add_f16_e32 v62, v62, v66
	v_mul_f16_sdwa v66, v23, s11 dst_sel:DWORD dst_unused:UNUSED_PAD src0_sel:WORD_1 src1_sel:DWORD
	v_fma_f16 v61, v23, s11, -v61
	v_fma_f16 v70, v17, s21, v66
	v_add_f16_e32 v61, v61, v63
	v_fma_f16 v63, v17, s14, v66
	v_pk_mul_f16 v17, v17, s20 op_sel_hi:[1,0]
	v_add_f16_e32 v63, v63, v65
	v_pk_fma_f16 v65, v23, s19, v17 op_sel:[0,0,1] op_sel_hi:[1,0,0]
	v_pk_fma_f16 v17, v23, s19, v17 op_sel:[0,0,1] op_sel_hi:[1,0,0] neg_lo:[0,0,1] neg_hi:[0,0,1]
	v_pk_add_f16 v65, v65, v67
	v_pk_add_f16 v66, v17, v1
	v_pk_add_f16 v67, v27, v15 neg_lo:[0,1] neg_hi:[0,1]
	v_pk_add_f16 v1, v46, v21
	v_add_f16_e32 v76, v77, v76
	v_pk_mul_f16 v17, v67, s28 op_sel_hi:[1,0]
	v_pk_add_f16 v1, v1, v19
	v_pk_add_f16 v77, v15, v27
	;; [unrolled: 1-line block ×3, first 2 shown]
	v_pk_fma_f16 v19, v77, s27, v17 op_sel:[0,0,1] op_sel_hi:[1,0,0]
	v_pk_fma_f16 v13, v77, s27, v17 op_sel:[0,0,1] op_sel_hi:[1,0,0] neg_lo:[0,0,1] neg_hi:[0,0,1]
	s_mov_b32 s35, 0xffff
	v_add_f16_e32 v74, v74, v76
	v_mul_f16_sdwa v23, v67, s12 dst_sel:DWORD dst_unused:UNUSED_PAD src0_sel:WORD_1 src1_sel:DWORD
	v_pk_mul_f16 v15, v77, s27 op_sel_hi:[1,0]
	v_bfi_b32 v13, s35, v19, v13
	v_pack_b32_f16 v19, v29, v52
	v_add_f16_e32 v72, v72, v74
	v_add_f16_e32 v69, v69, v71
	v_mul_f16_sdwa v71, v67, s26 dst_sel:DWORD dst_unused:UNUSED_PAD src0_sel:WORD_1 src1_sel:DWORD
	v_pk_add_f16 v52, v13, v19
	v_pk_add_f16 v78, v1, v11
	v_sub_f16_sdwa v1, v15, v17 dst_sel:DWORD dst_unused:UNUSED_PAD src0_sel:DWORD src1_sel:WORD_1
	v_add_f16_sdwa v11, v17, v15 dst_sel:DWORD dst_unused:UNUSED_PAD src0_sel:DWORD src1_sel:WORD_1
	v_fma_f16 v13, v77, s10, v23
	v_mul_f16_sdwa v15, v77, s10 dst_sel:DWORD dst_unused:UNUSED_PAD src0_sel:WORD_1 src1_sel:DWORD
	v_add_f16_e32 v70, v70, v72
	v_mul_f16_sdwa v72, v67, s14 dst_sel:DWORD dst_unused:UNUSED_PAD src0_sel:WORD_1 src1_sel:DWORD
	v_add_f16_e32 v79, v13, v35
	v_fma_f16 v13, v67, s17, v15
	v_fma_f16 v17, v77, s24, v71
	v_mul_f16_sdwa v19, v77, s24 dst_sel:DWORD dst_unused:UNUSED_PAD src0_sel:WORD_1 src1_sel:DWORD
	v_mul_f16_sdwa v75, v67, s20 dst_sel:DWORD dst_unused:UNUSED_PAD src0_sel:WORD_1 src1_sel:DWORD
	v_add_f16_e32 v56, v13, v56
	v_fma_f16 v13, v77, s10, -v23
	v_fma_f16 v15, v67, s12, v15
	v_add_f16_e32 v80, v17, v47
	v_fma_f16 v17, v67, s33, v19
	v_fma_f16 v21, v77, s11, v72
	v_mul_f16_sdwa v23, v77, s11 dst_sel:DWORD dst_unused:UNUSED_PAD src0_sel:WORD_1 src1_sel:DWORD
	v_mul_f16_sdwa v73, v67, s23 dst_sel:DWORD dst_unused:UNUSED_PAD src0_sel:WORD_1 src1_sel:DWORD
	;; [unrolled: 1-line block ×3, first 2 shown]
	v_add_f16_e32 v13, v13, v33
	v_add_f16_e32 v15, v15, v37
	;; [unrolled: 1-line block ×3, first 2 shown]
	v_fma_f16 v17, v77, s24, -v71
	v_add_f16_e32 v50, v21, v50
	v_fma_f16 v21, v67, s21, v23
	v_mul_f16_sdwa v33, v77, s13 dst_sel:DWORD dst_unused:UNUSED_PAD src0_sel:WORD_1 src1_sel:DWORD
	v_fma_f16 v37, v77, s19, v75
	v_mul_f16_sdwa v46, v77, s19 dst_sel:DWORD dst_unused:UNUSED_PAD src0_sel:WORD_1 src1_sel:DWORD
	v_pk_mul_f16 v76, v67, s18 op_sel_hi:[1,0]
	v_add_f16_e32 v1, v1, v25
	v_add_f16_e32 v11, v11, v31
	;; [unrolled: 1-line block ×3, first 2 shown]
	v_fma_f16 v19, v67, s26, v19
	v_add_f16_e32 v64, v21, v64
	v_fma_f16 v21, v77, s11, -v72
	v_fma_f16 v23, v67, s14, v23
	v_fma_f16 v25, v77, s22, v73
	v_mul_f16_sdwa v27, v77, s22 dst_sel:DWORD dst_unused:UNUSED_PAD src0_sel:WORD_1 src1_sel:DWORD
	v_fma_f16 v29, v77, s13, v74
	v_fma_f16 v31, v67, s25, v33
	v_add_f16_e32 v39, v37, v62
	v_fma_f16 v37, v67, s30, v46
	s_movk_i32 s0, 0x44
	v_add_f16_e32 v19, v19, v48
	v_add_f16_e32 v21, v21, v49
	;; [unrolled: 1-line block ×4, first 2 shown]
	v_fma_f16 v25, v67, s31, v27
	v_add_f16_e32 v29, v29, v58
	v_add_f16_e32 v35, v31, v69
	;; [unrolled: 1-line block ×3, first 2 shown]
	v_pk_fma_f16 v48, v77, s15, v76 op_sel:[0,0,1] op_sel_hi:[1,0,0]
	v_pk_fma_f16 v49, v77, s15, v76 op_sel:[0,0,1] op_sel_hi:[1,0,0] neg_lo:[0,0,1] neg_hi:[0,0,1]
	v_mad_u32_u24 v45, v4, s0, v40
	v_add_f16_e32 v54, v25, v68
	v_fma_f16 v25, v77, s22, -v73
	v_fma_f16 v27, v67, s23, v27
	v_fma_f16 v31, v77, s13, -v74
	v_fma_f16 v33, v67, s16, v33
	;; [unrolled: 2-line block ×3, first 2 shown]
	v_pk_add_f16 v48, v48, v65
	v_pk_add_f16 v49, v49, v66
	v_pack_b32_f16 v39, v39, v47
	v_pack_b32_f16 v29, v29, v35
	s_waitcnt lgkmcnt(0)
	; wave barrier
	v_add_f16_e32 v25, v25, v53
	v_add_f16_e32 v27, v27, v55
	;; [unrolled: 1-line block ×6, first 2 shown]
	ds_write2_b32 v45, v29, v39 offset0:6 offset1:7
	v_bfi_b32 v29, s35, v49, v48
	v_bfi_b32 v35, s35, v48, v49
	ds_write2_b32 v45, v78, v52 offset1:1
	v_pack_b32_f16 v52, v80, v60
	v_pack_b32_f16 v53, v79, v56
	;; [unrolled: 1-line block ×4, first 2 shown]
	ds_write2_b32 v45, v35, v29 offset0:8 offset1:9
	v_pack_b32_f16 v29, v31, v33
	v_pack_b32_f16 v31, v37, v46
	;; [unrolled: 1-line block ×7, first 2 shown]
	v_cmp_gt_u32_e64 s[0:1], 7, v4
	ds_write2_b32 v45, v53, v52 offset0:2 offset1:3
	ds_write2_b32 v45, v50, v51 offset0:4 offset1:5
	ds_write2_b32 v45, v31, v29 offset0:10 offset1:11
	ds_write2_b32 v45, v23, v21 offset0:12 offset1:13
	ds_write2_b32 v45, v15, v13 offset0:14 offset1:15
	ds_write_b32 v45, v1 offset:64
	s_and_saveexec_b64 s[4:5], s[0:1]
	s_cbranch_execz .LBB0_14
; %bb.13:
	v_pk_add_f16 v1, v44, v36
	v_pk_add_f16 v35, v36, v44 neg_lo:[0,1] neg_hi:[0,1]
	v_pk_add_f16 v11, v10, v38
	v_mul_f16_sdwa v48, v1, s24 dst_sel:DWORD dst_unused:UNUSED_PAD src0_sel:WORD_1 src1_sel:DWORD
	v_pk_add_f16 v33, v38, v10 neg_lo:[0,1] neg_hi:[0,1]
	v_pk_add_f16 v13, v12, v34
	v_fma_f16 v37, v35, s33, v48
	v_mul_f16_sdwa v49, v11, s13 dst_sel:DWORD dst_unused:UNUSED_PAD src0_sel:WORD_1 src1_sel:DWORD
	v_pk_add_f16 v31, v34, v12 neg_lo:[0,1] neg_hi:[0,1]
	v_pk_add_f16 v15, v18, v32
	v_add_f16_sdwa v37, v0, v37 dst_sel:DWORD dst_unused:UNUSED_PAD src0_sel:WORD_1 src1_sel:DWORD
	v_fma_f16 v39, v33, s25, v49
	v_mul_f16_sdwa v50, v13, s15 dst_sel:DWORD dst_unused:UNUSED_PAD src0_sel:WORD_1 src1_sel:DWORD
	v_pk_add_f16 v29, v32, v18 neg_lo:[0,1] neg_hi:[0,1]
	v_pk_add_f16 v17, v20, v30
	v_add_f16_e32 v37, v39, v37
	v_fma_f16 v39, v31, s18, v50
	v_mul_f16_sdwa v51, v15, s22 dst_sel:DWORD dst_unused:UNUSED_PAD src0_sel:WORD_1 src1_sel:DWORD
	v_pk_add_f16 v27, v30, v20 neg_lo:[0,1] neg_hi:[0,1]
	v_pk_add_f16 v19, v22, v28
	v_add_f16_e32 v37, v39, v37
	;; [unrolled: 5-line block ×3, first 2 shown]
	v_fma_f16 v39, v27, s12, v52
	v_mul_f16_sdwa v53, v19, s27 dst_sel:DWORD dst_unused:UNUSED_PAD src0_sel:WORD_1 src1_sel:DWORD
	v_pk_add_f16 v23, v26, v24 neg_lo:[0,1] neg_hi:[0,1]
	v_add_f16_e32 v37, v39, v37
	v_fma_f16 v39, v25, s34, v53
	v_mul_f16_sdwa v54, v21, s11 dst_sel:DWORD dst_unused:UNUSED_PAD src0_sel:WORD_1 src1_sel:DWORD
	v_add_f16_e32 v37, v39, v37
	v_fma_f16 v39, v23, s21, v54
	v_mul_f16_sdwa v55, v35, s26 dst_sel:DWORD dst_unused:UNUSED_PAD src0_sel:WORD_1 src1_sel:DWORD
	;; [unrolled: 3-line block ×10, first 2 shown]
	v_add_f16_sdwa v45, v0, v45 dst_sel:DWORD dst_unused:UNUSED_PAD src0_sel:WORD_1 src1_sel:DWORD
	v_fma_f16 v46, v33, s20, v63
	v_mul_f16_sdwa v64, v13, s10 dst_sel:DWORD dst_unused:UNUSED_PAD src0_sel:WORD_1 src1_sel:DWORD
	v_add_f16_e32 v45, v46, v45
	v_fma_f16 v46, v31, s12, v64
	v_mul_f16_sdwa v65, v15, s24 dst_sel:DWORD dst_unused:UNUSED_PAD src0_sel:WORD_1 src1_sel:DWORD
	v_add_f16_e32 v45, v46, v45
	;; [unrolled: 3-line block ×13, first 2 shown]
	v_fma_f16 v47, v35, s30, v76
	v_mul_f16_sdwa v77, v11, s24 dst_sel:DWORD dst_unused:UNUSED_PAD src0_sel:WORD_1 src1_sel:DWORD
	v_add_f16_sdwa v47, v0, v47 dst_sel:DWORD dst_unused:UNUSED_PAD src0_sel:WORD_1 src1_sel:DWORD
	v_fma_f16 v78, v33, s26, v77
	v_add_f16_e32 v47, v78, v47
	v_mul_f16_sdwa v78, v13, s11 dst_sel:DWORD dst_unused:UNUSED_PAD src0_sel:WORD_1 src1_sel:DWORD
	v_fma_f16 v79, v31, s21, v78
	v_add_f16_e32 v47, v79, v47
	v_mul_f16_sdwa v79, v15, s13 dst_sel:DWORD dst_unused:UNUSED_PAD src0_sel:WORD_1 src1_sel:DWORD
	;; [unrolled: 3-line block ×6, first 2 shown]
	v_fma_f16 v84, v1, s19, v83
	v_mul_f16_sdwa v85, v33, s33 dst_sel:DWORD dst_unused:UNUSED_PAD src0_sel:WORD_1 src1_sel:DWORD
	v_pk_add_f16 v36, v0, v36
	v_add_f16_e32 v84, v0, v84
	v_fma_f16 v86, v11, s24, v85
	v_pk_add_f16 v36, v36, v38
	v_mul_f16_sdwa v38, v31, s14 dst_sel:DWORD dst_unused:UNUSED_PAD src0_sel:WORD_1 src1_sel:DWORD
	v_add_f16_e32 v84, v86, v84
	v_fma_f16 v86, v13, s11, v38
	v_add_f16_e32 v84, v86, v84
	v_mul_f16_sdwa v86, v29, s25 dst_sel:DWORD dst_unused:UNUSED_PAD src0_sel:WORD_1 src1_sel:DWORD
	v_fma_f16 v87, v15, s13, v86
	v_pk_add_f16 v34, v36, v34
	v_mul_f16_sdwa v36, v27, s28 dst_sel:DWORD dst_unused:UNUSED_PAD src0_sel:WORD_1 src1_sel:DWORD
	v_add_f16_e32 v84, v87, v84
	v_fma_f16 v87, v17, s27, v36
	v_add_f16_e32 v84, v87, v84
	v_mul_f16_sdwa v87, v25, s18 dst_sel:DWORD dst_unused:UNUSED_PAD src0_sel:WORD_1 src1_sel:DWORD
	;; [unrolled: 7-line block ×3, first 2 shown]
	v_pk_add_f16 v30, v32, v30
	v_fma_f16 v32, v35, s18, v88
	v_mul_f16_sdwa v89, v11, s27 dst_sel:DWORD dst_unused:UNUSED_PAD src0_sel:WORD_1 src1_sel:DWORD
	v_add_f16_sdwa v32, v0, v32 dst_sel:DWORD dst_unused:UNUSED_PAD src0_sel:WORD_1 src1_sel:DWORD
	v_fma_f16 v90, v33, s34, v89
	v_pk_add_f16 v28, v30, v28
	v_mul_f16_sdwa v30, v13, s19 dst_sel:DWORD dst_unused:UNUSED_PAD src0_sel:WORD_1 src1_sel:DWORD
	v_add_f16_e32 v32, v90, v32
	v_fma_f16 v90, v31, s20, v30
	v_add_f16_e32 v32, v90, v32
	v_mul_f16_sdwa v90, v15, s10 dst_sel:DWORD dst_unused:UNUSED_PAD src0_sel:WORD_1 src1_sel:DWORD
	v_fma_f16 v91, v29, s17, v90
	v_pk_add_f16 v26, v28, v26
	v_mul_f16_sdwa v28, v17, s13 dst_sel:DWORD dst_unused:UNUSED_PAD src0_sel:WORD_1 src1_sel:DWORD
	v_add_f16_e32 v32, v91, v32
	v_fma_f16 v91, v27, s16, v28
	v_pk_add_f16 v26, v26, v14
	v_add_f16_e32 v32, v91, v32
	v_mul_f16_sdwa v91, v19, s24 dst_sel:DWORD dst_unused:UNUSED_PAD src0_sel:WORD_1 src1_sel:DWORD
	v_pk_add_f16 v26, v26, v16
	v_fma_f16 v92, v25, s33, v91
	v_pk_add_f16 v24, v26, v24
	v_mul_f16_sdwa v26, v21, s22 dst_sel:DWORD dst_unused:UNUSED_PAD src0_sel:WORD_1 src1_sel:DWORD
	v_add_f16_e32 v32, v92, v32
	v_fma_f16 v92, v23, s23, v26
	v_add_f16_e32 v32, v92, v32
	v_mul_f16_sdwa v92, v35, s29 dst_sel:DWORD dst_unused:UNUSED_PAD src0_sel:WORD_1 src1_sel:DWORD
	v_pk_add_f16 v22, v24, v22
	v_fma_f16 v24, v1, s15, v92
	v_mul_f16_sdwa v93, v33, s28 dst_sel:DWORD dst_unused:UNUSED_PAD src0_sel:WORD_1 src1_sel:DWORD
	v_add_f16_e32 v24, v0, v24
	v_fma_f16 v94, v11, s27, v93
	v_pk_add_f16 v20, v22, v20
	v_mul_f16_sdwa v22, v31, s30 dst_sel:DWORD dst_unused:UNUSED_PAD src0_sel:WORD_1 src1_sel:DWORD
	v_add_f16_e32 v24, v94, v24
	v_fma_f16 v94, v13, s19, v22
	v_add_f16_e32 v24, v94, v24
	v_mul_f16_sdwa v94, v29, s12 dst_sel:DWORD dst_unused:UNUSED_PAD src0_sel:WORD_1 src1_sel:DWORD
	v_fma_f16 v95, v15, s10, v94
	v_add_f16_e32 v24, v95, v24
	v_mul_f16_sdwa v95, v27, s25 dst_sel:DWORD dst_unused:UNUSED_PAD src0_sel:WORD_1 src1_sel:DWORD
	;; [unrolled: 3-line block ×5, first 2 shown]
	v_fma_f16 v99, v35, s16, v98
	v_mul_f16_sdwa v100, v11, s22 dst_sel:DWORD dst_unused:UNUSED_PAD src0_sel:WORD_1 src1_sel:DWORD
	v_add_f16_sdwa v99, v0, v99 dst_sel:DWORD dst_unused:UNUSED_PAD src0_sel:WORD_1 src1_sel:DWORD
	v_fma_f16 v101, v33, s31, v100
	v_add_f16_e32 v99, v101, v99
	v_mul_f16_sdwa v101, v13, s27 dst_sel:DWORD dst_unused:UNUSED_PAD src0_sel:WORD_1 src1_sel:DWORD
	v_fma_f16 v102, v31, s28, v101
	v_add_f16_e32 v99, v102, v99
	v_mul_f16_sdwa v102, v15, s19 dst_sel:DWORD dst_unused:UNUSED_PAD src0_sel:WORD_1 src1_sel:DWORD
	v_fma_f16 v48, v35, s26, v48
	v_fma_f16 v103, v29, s20, v102
	v_add_f16_sdwa v48, v0, v48 dst_sel:DWORD dst_unused:UNUSED_PAD src0_sel:WORD_1 src1_sel:DWORD
	v_fma_f16 v49, v33, s16, v49
	v_add_f16_e32 v99, v103, v99
	v_mul_f16_sdwa v103, v17, s11 dst_sel:DWORD dst_unused:UNUSED_PAD src0_sel:WORD_1 src1_sel:DWORD
	v_add_f16_e32 v48, v49, v48
	v_fma_f16 v49, v31, s29, v50
	v_fma_f16 v104, v27, s21, v103
	v_add_f16_e32 v48, v49, v48
	v_fma_f16 v49, v29, s31, v51
	v_add_f16_e32 v99, v104, v99
	v_mul_f16_sdwa v104, v19, s10 dst_sel:DWORD dst_unused:UNUSED_PAD src0_sel:WORD_1 src1_sel:DWORD
	v_add_f16_e32 v48, v49, v48
	v_fma_f16 v49, v27, s17, v52
	v_fma_f16 v105, v25, s12, v104
	v_add_f16_e32 v48, v49, v48
	;; [unrolled: 7-line block ×3, first 2 shown]
	v_fma_f16 v49, v1, s24, -v55
	v_add_f16_e32 v99, v106, v99
	v_mul_f16_sdwa v106, v35, s25 dst_sel:DWORD dst_unused:UNUSED_PAD src0_sel:WORD_1 src1_sel:DWORD
	v_add_f16_e32 v49, v0, v49
	v_fma_f16 v50, v11, s13, -v56
	v_fma_f16 v107, v1, s13, v106
	v_mul_f16_sdwa v108, v33, s23 dst_sel:DWORD dst_unused:UNUSED_PAD src0_sel:WORD_1 src1_sel:DWORD
	v_add_f16_e32 v49, v50, v49
	v_fma_f16 v50, v13, s15, -v57
	v_add_f16_e32 v107, v0, v107
	v_fma_f16 v109, v11, s22, v108
	v_add_f16_e32 v49, v50, v49
	v_fma_f16 v50, v15, s22, -v58
	v_add_f16_e32 v107, v109, v107
	v_mul_f16_sdwa v109, v31, s34 dst_sel:DWORD dst_unused:UNUSED_PAD src0_sel:WORD_1 src1_sel:DWORD
	v_add_f16_e32 v49, v50, v49
	v_fma_f16 v50, v17, s10, -v59
	v_fma_f16 v110, v13, s27, v109
	v_add_f16_e32 v49, v50, v49
	v_fma_f16 v50, v19, s27, -v60
	v_add_f16_e32 v107, v110, v107
	v_mul_f16_sdwa v110, v29, s30 dst_sel:DWORD dst_unused:UNUSED_PAD src0_sel:WORD_1 src1_sel:DWORD
	v_add_f16_e32 v49, v50, v49
	v_fma_f16 v50, v21, s11, -v61
	v_fma_f16 v111, v15, s19, v110
	v_add_f16_e32 v49, v50, v49
	v_fma_f16 v50, v35, s23, v62
	v_add_f16_e32 v107, v111, v107
	v_mul_f16_sdwa v111, v27, s14 dst_sel:DWORD dst_unused:UNUSED_PAD src0_sel:WORD_1 src1_sel:DWORD
	v_add_f16_sdwa v50, v0, v50 dst_sel:DWORD dst_unused:UNUSED_PAD src0_sel:WORD_1 src1_sel:DWORD
	v_fma_f16 v51, v33, s30, v63
	v_fma_f16 v112, v17, s11, v111
	v_add_f16_e32 v50, v51, v50
	v_fma_f16 v51, v31, s17, v64
	v_add_f16_e32 v107, v112, v107
	v_mul_f16_sdwa v112, v25, s17 dst_sel:DWORD dst_unused:UNUSED_PAD src0_sel:WORD_1 src1_sel:DWORD
	v_add_f16_e32 v50, v51, v50
	v_fma_f16 v51, v29, s26, v65
	v_fma_f16 v113, v19, s10, v112
	v_add_f16_e32 v50, v51, v50
	v_fma_f16 v51, v27, s18, v66
	v_add_f16_e32 v107, v113, v107
	v_mul_f16_sdwa v113, v23, s29 dst_sel:DWORD dst_unused:UNUSED_PAD src0_sel:WORD_1 src1_sel:DWORD
	v_add_f16_e32 v50, v51, v50
	v_fma_f16 v51, v25, s21, v67
	v_fma_f16 v114, v21, s15, v113
	v_add_f16_e32 v50, v51, v50
	v_fma_f16 v51, v23, s28, v68
	v_add_f16_e32 v107, v114, v107
	v_mul_f16_sdwa v114, v1, s11 dst_sel:DWORD dst_unused:UNUSED_PAD src0_sel:WORD_1 src1_sel:DWORD
	v_add_f16_e32 v50, v51, v50
	v_fma_f16 v51, v1, s22, -v69
	v_fma_f16 v115, v35, s14, v114
	v_mul_f16_sdwa v116, v11, s15 dst_sel:DWORD dst_unused:UNUSED_PAD src0_sel:WORD_1 src1_sel:DWORD
	v_add_f16_e32 v51, v0, v51
	v_fma_f16 v52, v11, s19, -v70
	v_add_f16_sdwa v115, v0, v115 dst_sel:DWORD dst_unused:UNUSED_PAD src0_sel:WORD_1 src1_sel:DWORD
	v_fma_f16 v117, v33, s18, v116
	v_add_f16_e32 v51, v52, v51
	v_fma_f16 v52, v13, s10, -v71
	v_add_f16_e32 v115, v117, v115
	v_mul_f16_sdwa v117, v13, s22 dst_sel:DWORD dst_unused:UNUSED_PAD src0_sel:WORD_1 src1_sel:DWORD
	v_add_f16_e32 v51, v52, v51
	v_fma_f16 v52, v15, s24, -v72
	v_fma_f16 v118, v31, s31, v117
	v_add_f16_e32 v51, v52, v51
	v_fma_f16 v52, v17, s15, -v73
	v_add_f16_e32 v115, v118, v115
	v_mul_f16_sdwa v118, v15, s27 dst_sel:DWORD dst_unused:UNUSED_PAD src0_sel:WORD_1 src1_sel:DWORD
	v_add_f16_e32 v51, v52, v51
	v_fma_f16 v52, v19, s11, -v74
	v_fma_f16 v119, v29, s34, v118
	v_add_f16_e32 v51, v52, v51
	v_fma_f16 v52, v21, s27, -v75
	v_add_f16_e32 v115, v119, v115
	v_mul_f16_sdwa v119, v17, s24 dst_sel:DWORD dst_unused:UNUSED_PAD src0_sel:WORD_1 src1_sel:DWORD
	v_add_f16_e32 v51, v52, v51
	v_fma_f16 v52, v35, s20, v76
	v_fma_f16 v120, v27, s26, v119
	v_add_f16_sdwa v52, v0, v52 dst_sel:DWORD dst_unused:UNUSED_PAD src0_sel:WORD_1 src1_sel:DWORD
	v_fma_f16 v53, v33, s33, v77
	v_add_f16_e32 v115, v120, v115
	v_mul_f16_sdwa v120, v19, s19 dst_sel:DWORD dst_unused:UNUSED_PAD src0_sel:WORD_1 src1_sel:DWORD
	v_add_f16_e32 v52, v53, v52
	v_fma_f16 v53, v31, s14, v78
	v_fma_f16 v121, v25, s20, v120
	v_add_f16_e32 v52, v53, v52
	v_fma_f16 v53, v29, s25, v79
	v_add_f16_e32 v115, v121, v115
	v_mul_f16_sdwa v121, v21, s13 dst_sel:DWORD dst_unused:UNUSED_PAD src0_sel:WORD_1 src1_sel:DWORD
	v_add_f16_e32 v52, v53, v52
	v_fma_f16 v53, v27, s28, v80
	v_fma_f16 v122, v23, s25, v121
	v_add_f16_e32 v52, v53, v52
	v_fma_f16 v53, v25, s18, v81
	v_add_f16_e32 v115, v122, v115
	v_mul_f16_sdwa v122, v35, s21 dst_sel:DWORD dst_unused:UNUSED_PAD src0_sel:WORD_1 src1_sel:DWORD
	v_add_f16_e32 v52, v53, v52
	v_fma_f16 v53, v23, s17, v82
	v_fma_f16 v123, v1, s11, v122
	v_mul_f16_sdwa v124, v33, s29 dst_sel:DWORD dst_unused:UNUSED_PAD src0_sel:WORD_1 src1_sel:DWORD
	v_add_f16_e32 v52, v53, v52
	v_fma_f16 v53, v1, s19, -v83
	v_add_f16_e32 v123, v0, v123
	v_fma_f16 v125, v11, s15, v124
	v_add_f16_e32 v53, v0, v53
	v_fma_f16 v54, v11, s24, -v85
	v_add_f16_e32 v123, v125, v123
	v_mul_f16_sdwa v125, v31, s23 dst_sel:DWORD dst_unused:UNUSED_PAD src0_sel:WORD_1 src1_sel:DWORD
	v_add_f16_e32 v53, v54, v53
	v_fma_f16 v38, v13, s11, -v38
	v_fma_f16 v126, v13, s22, v125
	v_add_f16_e32 v38, v38, v53
	v_fma_f16 v53, v15, s13, -v86
	v_add_f16_e32 v123, v126, v123
	v_mul_f16_sdwa v126, v29, s28 dst_sel:DWORD dst_unused:UNUSED_PAD src0_sel:WORD_1 src1_sel:DWORD
	v_add_f16_e32 v38, v53, v38
	v_fma_f16 v53, v1, s13, -v106
	;; [unrolled: 7-line block ×4, first 2 shown]
	v_fma_f16 v129, v19, s19, v128
	v_fma_f16 v36, v17, s27, -v36
	v_add_f16_e32 v53, v57, v53
	v_fma_f16 v58, v19, s10, -v112
	v_add_f16_e32 v123, v129, v123
	v_mul_f16_sdwa v129, v23, s16 dst_sel:DWORD dst_unused:UNUSED_PAD src0_sel:WORD_1 src1_sel:DWORD
	v_add_f16_e32 v36, v36, v38
	v_fma_f16 v38, v19, s15, -v87
	v_add_f16_e32 v53, v58, v53
	v_fma_f16 v59, v21, s15, -v113
	v_fma_f16 v130, v21, s13, v129
	v_add_f16_e32 v36, v38, v36
	v_fma_f16 v34, v21, s10, -v34
	v_add_f16_e32 v53, v59, v53
	v_fma_f16 v59, v35, s21, v114
	v_add_f16_e32 v123, v130, v123
	v_mul_f16_sdwa v130, v1, s10 dst_sel:DWORD dst_unused:UNUSED_PAD src0_sel:WORD_1 src1_sel:DWORD
	v_add_f16_e32 v34, v34, v36
	v_fma_f16 v36, v35, s29, v88
	v_add_f16_sdwa v59, v0, v59 dst_sel:DWORD dst_unused:UNUSED_PAD src0_sel:WORD_1 src1_sel:DWORD
	v_fma_f16 v60, v33, s29, v116
	v_fma_f16 v131, v35, s12, v130
	v_mul_f16_sdwa v132, v11, s11 dst_sel:DWORD dst_unused:UNUSED_PAD src0_sel:WORD_1 src1_sel:DWORD
	v_add_f16_sdwa v36, v0, v36 dst_sel:DWORD dst_unused:UNUSED_PAD src0_sel:WORD_1 src1_sel:DWORD
	v_fma_f16 v38, v33, s28, v89
	v_add_f16_e32 v59, v60, v59
	v_fma_f16 v60, v31, s23, v117
	v_add_f16_sdwa v131, v0, v131 dst_sel:DWORD dst_unused:UNUSED_PAD src0_sel:WORD_1 src1_sel:DWORD
	v_fma_f16 v133, v33, s14, v132
	v_add_f16_e32 v36, v38, v36
	v_fma_f16 v30, v31, s30, v30
	v_add_f16_e32 v59, v60, v59
	;; [unrolled: 2-line block ×3, first 2 shown]
	v_mul_f16_sdwa v133, v13, s13 dst_sel:DWORD dst_unused:UNUSED_PAD src0_sel:WORD_1 src1_sel:DWORD
	v_add_f16_e32 v30, v30, v36
	v_fma_f16 v36, v29, s12, v90
	v_add_f16_e32 v59, v60, v59
	v_fma_f16 v60, v27, s33, v119
	v_fma_f16 v134, v31, s16, v133
	v_add_f16_e32 v30, v36, v30
	v_fma_f16 v28, v27, s25, v28
	v_add_f16_e32 v59, v60, v59
	;; [unrolled: 2-line block ×3, first 2 shown]
	v_mul_f16_sdwa v134, v15, s15 dst_sel:DWORD dst_unused:UNUSED_PAD src0_sel:WORD_1 src1_sel:DWORD
	v_add_f16_e32 v28, v28, v30
	v_fma_f16 v30, v25, s26, v91
	v_add_f16_e32 v59, v60, v59
	v_fma_f16 v60, v23, s16, v121
	v_fma_f16 v135, v29, s18, v134
	v_add_f16_e32 v28, v30, v28
	v_fma_f16 v26, v23, s31, v26
	v_add_f16_e32 v59, v60, v59
	v_fma_f16 v60, v1, s11, -v122
	v_add_f16_e32 v131, v135, v131
	v_mul_f16_sdwa v135, v17, s19 dst_sel:DWORD dst_unused:UNUSED_PAD src0_sel:WORD_1 src1_sel:DWORD
	v_add_f16_e32 v26, v26, v28
	v_fma_f16 v28, v1, s15, -v92
	v_add_f16_e32 v60, v0, v60
	v_fma_f16 v61, v11, s15, -v124
	v_fma_f16 v136, v27, s30, v135
	v_add_f16_e32 v28, v0, v28
	v_fma_f16 v30, v11, s27, -v93
	v_add_f16_e32 v60, v61, v60
	v_fma_f16 v61, v13, s22, -v125
	v_add_f16_e32 v131, v136, v131
	v_mul_f16_sdwa v136, v19, s22 dst_sel:DWORD dst_unused:UNUSED_PAD src0_sel:WORD_1 src1_sel:DWORD
	v_add_f16_e32 v28, v30, v28
	v_fma_f16 v22, v13, s19, -v22
	v_add_f16_e32 v60, v61, v60
	v_fma_f16 v61, v15, s27, -v126
	v_fma_f16 v137, v25, s31, v136
	v_add_f16_e32 v22, v22, v28
	v_fma_f16 v28, v15, s10, -v94
	;; [unrolled: 11-line block ×3, first 2 shown]
	v_add_f16_e32 v60, v61, v60
	v_fma_f16 v61, v21, s13, -v129
	v_add_f16_e32 v131, v138, v131
	v_mul_f16_sdwa v138, v35, s17 dst_sel:DWORD dst_unused:UNUSED_PAD src0_sel:WORD_1 src1_sel:DWORD
	v_add_f16_e32 v22, v28, v22
	v_fma_f16 v28, v21, s22, -v97
	v_add_f16_e32 v60, v61, v60
	v_fma_f16 v61, v35, s17, v130
	v_fma_f16 v139, v1, s10, v138
	v_mul_f16_sdwa v140, v33, s21 dst_sel:DWORD dst_unused:UNUSED_PAD src0_sel:WORD_1 src1_sel:DWORD
	v_add_f16_e32 v22, v28, v22
	v_fma_f16 v28, v35, s25, v98
	v_add_f16_sdwa v61, v0, v61 dst_sel:DWORD dst_unused:UNUSED_PAD src0_sel:WORD_1 src1_sel:DWORD
	v_fma_f16 v62, v33, s21, v132
	v_add_f16_e32 v139, v0, v139
	v_fma_f16 v141, v11, s11, v140
	v_add_f16_sdwa v28, v0, v28 dst_sel:DWORD dst_unused:UNUSED_PAD src0_sel:WORD_1 src1_sel:DWORD
	v_fma_f16 v30, v33, s23, v100
	v_add_f16_e32 v61, v62, v61
	v_fma_f16 v62, v31, s25, v133
	v_add_f16_e32 v139, v141, v139
	v_mul_f16_sdwa v141, v31, s25 dst_sel:DWORD dst_unused:UNUSED_PAD src0_sel:WORD_1 src1_sel:DWORD
	v_add_f16_e32 v28, v30, v28
	v_fma_f16 v30, v31, s34, v101
	v_add_f16_e32 v61, v62, v61
	v_fma_f16 v62, v29, s29, v134
	v_fma_f16 v142, v13, s13, v141
	v_add_f16_e32 v28, v30, v28
	v_fma_f16 v30, v29, s30, v102
	v_add_f16_e32 v61, v62, v61
	;; [unrolled: 2-line block ×3, first 2 shown]
	v_mul_f16_sdwa v142, v29, s29 dst_sel:DWORD dst_unused:UNUSED_PAD src0_sel:WORD_1 src1_sel:DWORD
	v_add_f16_e32 v28, v30, v28
	v_fma_f16 v30, v27, s14, v103
	v_add_f16_e32 v61, v62, v61
	v_fma_f16 v62, v25, s23, v136
	v_fma_f16 v143, v15, s15, v142
	v_add_f16_e32 v28, v30, v28
	v_pk_add_f16 v30, v14, v16 neg_lo:[0,1] neg_hi:[0,1]
	v_add_f16_e32 v61, v62, v61
	v_fma_f16 v62, v23, s26, v137
	v_pk_add_f16 v14, v16, v14
	v_add_f16_e32 v139, v143, v139
	v_mul_f16_sdwa v143, v27, s20 dst_sel:DWORD dst_unused:UNUSED_PAD src0_sel:WORD_1 src1_sel:DWORD
	v_fma_f16 v36, v25, s17, v104
	v_add_f16_e32 v61, v62, v61
	v_fma_f16 v62, v1, s10, -v138
	v_mul_f16_sdwa v16, v14, s19 dst_sel:DWORD dst_unused:UNUSED_PAD src0_sel:WORD_1 src1_sel:DWORD
	v_fma_f16 v144, v17, s19, v143
	v_add_f16_e32 v28, v36, v28
	v_mul_f16_sdwa v36, v30, s20 dst_sel:DWORD dst_unused:UNUSED_PAD src0_sel:WORD_1 src1_sel:DWORD
	v_add_f16_e32 v62, v0, v62
	v_fma_f16 v63, v11, s11, -v140
	v_pk_add_f16 v18, v20, v18
	v_fma_f16 v20, v30, s30, v16
	v_add_f16_e32 v139, v144, v139
	v_mul_f16_sdwa v144, v25, s23 dst_sel:DWORD dst_unused:UNUSED_PAD src0_sel:WORD_1 src1_sel:DWORD
	v_add_f16_e32 v62, v63, v62
	v_fma_f16 v63, v13, s13, -v141
	v_add_f16_e32 v20, v20, v37
	v_fma_f16 v37, v14, s19, v36
	v_fma_f16 v145, v19, s22, v144
	;; [unrolled: 1-line block ×3, first 2 shown]
	v_add_f16_e32 v62, v63, v62
	v_fma_f16 v63, v15, s15, -v142
	v_add_f16_e32 v37, v37, v39
	v_mul_f16_sdwa v39, v14, s13 dst_sel:DWORD dst_unused:UNUSED_PAD src0_sel:WORD_1 src1_sel:DWORD
	v_mul_f16_sdwa v66, v14, s11 dst_sel:DWORD dst_unused:UNUSED_PAD src0_sel:WORD_1 src1_sel:DWORD
	v_add_f16_e32 v139, v145, v139
	v_mul_f16_sdwa v145, v23, s26 dst_sel:DWORD dst_unused:UNUSED_PAD src0_sel:WORD_1 src1_sel:DWORD
	v_add_f16_e32 v28, v38, v28
	v_mul_f16_sdwa v38, v30, s16 dst_sel:DWORD dst_unused:UNUSED_PAD src0_sel:WORD_1 src1_sel:DWORD
	v_mul_f16_sdwa v55, v30, s14 dst_sel:DWORD dst_unused:UNUSED_PAD src0_sel:WORD_1 src1_sel:DWORD
	v_add_f16_e32 v62, v63, v62
	v_fma_f16 v63, v17, s19, -v143
	v_fma_f16 v64, v30, s25, v39
	v_fma_f16 v67, v30, s21, v66
	;; [unrolled: 1-line block ×3, first 2 shown]
	v_pk_mul_f16 v58, v30, s28 op_sel_hi:[1,0]
	v_add_f16_e32 v62, v63, v62
	v_fma_f16 v63, v19, s22, -v144
	v_add_f16_e32 v45, v64, v45
	v_fma_f16 v64, v14, s13, v38
	v_add_f16_e32 v32, v67, v32
	v_fma_f16 v67, v14, s11, v55
	v_pk_add_f16 v12, v18, v12
	v_add_f16_e32 v139, v146, v139
	v_mul_f16_sdwa v56, v30, s26 dst_sel:DWORD dst_unused:UNUSED_PAD src0_sel:WORD_1 src1_sel:DWORD
	v_mul_f16_sdwa v57, v30, s12 dst_sel:DWORD dst_unused:UNUSED_PAD src0_sel:WORD_1 src1_sel:DWORD
	v_add_f16_e32 v62, v63, v62
	v_fma_f16 v63, v21, s24, -v145
	v_add_f16_e32 v46, v64, v46
	v_mul_f16_sdwa v64, v14, s22 dst_sel:DWORD dst_unused:UNUSED_PAD src0_sel:WORD_1 src1_sel:DWORD
	v_add_f16_e32 v24, v67, v24
	v_mul_f16_sdwa v67, v14, s24 dst_sel:DWORD dst_unused:UNUSED_PAD src0_sel:WORD_1 src1_sel:DWORD
	v_mul_f16_sdwa v70, v14, s10 dst_sel:DWORD dst_unused:UNUSED_PAD src0_sel:WORD_1 src1_sel:DWORD
	v_pk_fma_f16 v73, v14, s27, v58 op_sel:[0,0,1] op_sel_hi:[1,0,0]
	v_pk_add_f16 v10, v12, v10
	v_pk_fma_f16 v12, v14, s27, v58 op_sel:[0,0,1] op_sel_hi:[1,0,0] neg_lo:[0,0,1] neg_hi:[0,0,1]
	v_mul_f16_sdwa v54, v30, s23 dst_sel:DWORD dst_unused:UNUSED_PAD src0_sel:WORD_1 src1_sel:DWORD
	v_add_f16_e32 v62, v63, v62
	v_mul_i32_i24_e32 v63, 0x44, v8
	v_fma_f16 v65, v30, s31, v64
	v_fma_f16 v68, v30, s33, v67
	;; [unrolled: 1-line block ×5, first 2 shown]
	v_bfi_b32 v12, s35, v73, v12
	v_pack_b32_f16 v73, v139, v131
	v_add3_u32 v63, 0, v63, v43
	v_add_f16_e32 v47, v65, v47
	v_fma_f16 v65, v14, s22, v54
	v_add_f16_e32 v68, v68, v99
	v_add_f16_e32 v69, v69, v107
	;; [unrolled: 1-line block ×4, first 2 shown]
	v_pk_add_f16 v12, v12, v73
	v_pk_add_f16 v10, v10, v44
	v_add_f16_e32 v65, v65, v84
	ds_write2_b32 v63, v10, v12 offset1:1
	v_pack_b32_f16 v10, v69, v68
	v_pack_b32_f16 v12, v72, v71
	ds_write2_b32 v63, v12, v10 offset0:2 offset1:3
	v_pack_b32_f16 v10, v65, v47
	v_pack_b32_f16 v12, v24, v32
	ds_write2_b32 v63, v12, v10 offset0:4 offset1:5
	v_pack_b32_f16 v10, v37, v20
	v_pack_b32_f16 v12, v46, v45
	ds_write2_b32 v63, v12, v10 offset0:6 offset1:7
	v_pk_mul_f16 v10, v35, s28 op_sel_hi:[1,0]
	v_pk_mul_f16 v20, v33, s12 op_sel_hi:[1,0]
	v_pk_fma_f16 v12, v1, s27, v10 op_sel:[0,0,1] op_sel_hi:[1,0,0]
	v_pk_fma_f16 v24, v11, s10, v20 op_sel:[0,0,1] op_sel_hi:[1,0,0]
	v_pk_add_f16 v12, v0, v12
	v_pk_fma_f16 v1, v1, s27, v10 op_sel:[0,0,1] op_sel_hi:[1,0,0] neg_lo:[0,0,1] neg_hi:[0,0,1]
	v_pk_add_f16 v12, v24, v12
	v_pk_mul_f16 v24, v31, s26 op_sel_hi:[1,0]
	v_pk_add_f16 v0, v0, v1
	v_pk_fma_f16 v1, v11, s10, v20 op_sel:[0,0,1] op_sel_hi:[1,0,0] neg_lo:[0,0,1] neg_hi:[0,0,1]
	v_fma_f16 v16, v30, s20, v16
	v_pk_fma_f16 v31, v13, s24, v24 op_sel:[0,0,1] op_sel_hi:[1,0,0]
	v_pk_mul_f16 v29, v29, s14 op_sel_hi:[1,0]
	v_pk_add_f16 v0, v1, v0
	v_pk_fma_f16 v1, v13, s24, v24 op_sel:[0,0,1] op_sel_hi:[1,0,0] neg_lo:[0,0,1] neg_hi:[0,0,1]
	v_add_f16_e32 v16, v16, v48
	v_fma_f16 v48, v14, s22, -v54
	v_pk_add_f16 v12, v31, v12
	v_pk_fma_f16 v31, v15, s11, v29 op_sel:[0,0,1] op_sel_hi:[1,0,0]
	v_pk_mul_f16 v27, v27, s23 op_sel_hi:[1,0]
	v_pk_add_f16 v0, v1, v0
	v_pk_fma_f16 v1, v15, s11, v29 op_sel:[0,0,1] op_sel_hi:[1,0,0] neg_lo:[0,0,1] neg_hi:[0,0,1]
	v_add_f16_e32 v34, v48, v34
	v_fma_f16 v48, v30, s14, v66
	v_pk_add_f16 v12, v31, v12
	v_pk_fma_f16 v31, v17, s22, v27 op_sel:[0,0,1] op_sel_hi:[1,0,0]
	v_pk_mul_f16 v25, v25, s16 op_sel_hi:[1,0]
	v_pk_add_f16 v0, v1, v0
	v_pk_fma_f16 v1, v17, s22, v27 op_sel:[0,0,1] op_sel_hi:[1,0,0] neg_lo:[0,0,1] neg_hi:[0,0,1]
	v_fma_f16 v36, v14, s19, -v36
	v_add_f16_e32 v26, v48, v26
	v_fma_f16 v48, v14, s11, -v55
	v_pk_add_f16 v12, v31, v12
	v_pk_fma_f16 v31, v19, s13, v25 op_sel:[0,0,1] op_sel_hi:[1,0,0]
	v_pk_mul_f16 v23, v23, s20 op_sel_hi:[1,0]
	v_pk_add_f16 v0, v1, v0
	v_pk_fma_f16 v1, v19, s13, v25 op_sel:[0,0,1] op_sel_hi:[1,0,0] neg_lo:[0,0,1] neg_hi:[0,0,1]
	v_add_f16_e32 v36, v36, v49
	v_fma_f16 v39, v30, s16, v39
	v_fma_f16 v44, v30, s23, v64
	v_add_f16_e32 v22, v48, v22
	v_fma_f16 v48, v30, s26, v67
	v_fma_f16 v49, v30, s12, v70
	v_pk_add_f16 v12, v31, v12
	v_pk_fma_f16 v31, v21, s19, v23 op_sel:[0,0,1] op_sel_hi:[1,0,0]
	v_pk_mul_f16 v30, v30, s18 op_sel_hi:[1,0]
	v_pk_add_f16 v0, v1, v0
	v_pk_fma_f16 v1, v21, s19, v23 op_sel:[0,0,1] op_sel_hi:[1,0,0] neg_lo:[0,0,1] neg_hi:[0,0,1]
	v_pk_add_f16 v12, v31, v12
	v_pk_add_f16 v0, v1, v0
	v_pk_fma_f16 v1, v14, s15, v30 op_sel:[0,0,1] op_sel_hi:[1,0,0]
	v_pk_fma_f16 v10, v14, s15, v30 op_sel:[0,0,1] op_sel_hi:[1,0,0] neg_lo:[0,0,1] neg_hi:[0,0,1]
	v_fma_f16 v38, v14, s13, -v38
	v_pk_add_f16 v1, v1, v12
	v_pk_add_f16 v0, v10, v0
	v_add_f16_e32 v39, v39, v50
	v_add_f16_e32 v38, v38, v51
	v_bfi_b32 v10, s35, v0, v1
	v_bfi_b32 v0, s35, v1, v0
	v_pk_mul_f16 v18, v14, s27 op_sel_hi:[1,0]
	v_add_f16_e32 v44, v44, v52
	v_add_f16_e32 v28, v48, v28
	v_fma_f16 v48, v14, s24, -v56
	v_fma_f16 v50, v14, s10, -v57
	ds_write2_b32 v63, v0, v10 offset0:8 offset1:9
	v_pack_b32_f16 v0, v38, v39
	v_pack_b32_f16 v1, v36, v16
	v_add_f16_e32 v48, v48, v53
	v_add_f16_e32 v49, v49, v59
	;; [unrolled: 1-line block ×3, first 2 shown]
	v_add_f16_sdwa v51, v58, v18 dst_sel:DWORD dst_unused:UNUSED_PAD src0_sel:DWORD src1_sel:WORD_1
	v_sub_f16_sdwa v18, v18, v58 dst_sel:DWORD dst_unused:UNUSED_PAD src0_sel:DWORD src1_sel:WORD_1
	ds_write2_b32 v63, v1, v0 offset0:10 offset1:11
	v_pack_b32_f16 v0, v22, v26
	v_pack_b32_f16 v1, v34, v44
	v_add_f16_e32 v51, v51, v61
	v_add_f16_e32 v18, v18, v62
	ds_write2_b32 v63, v1, v0 offset0:12 offset1:13
	v_pack_b32_f16 v0, v50, v49
	v_pack_b32_f16 v1, v48, v28
	ds_write2_b32 v63, v1, v0 offset0:14 offset1:15
	v_pack_b32_f16 v0, v18, v51
	ds_write_b32 v63, v0 offset:64
.LBB0_14:
	s_or_b64 exec, exec, s[4:5]
	v_lshlrev_b32_e32 v0, 2, v8
	v_add3_u32 v12, 0, v0, v43
	v_lshlrev_b32_e32 v0, 1, v4
	v_mov_b32_e32 v1, 0
	v_lshl_add_u64 v[16:17], v[0:1], 2, s[8:9]
	s_waitcnt lgkmcnt(0)
	; wave barrier
	s_waitcnt lgkmcnt(0)
	ds_read2_b32 v[10:11], v9 offset0:136 offset1:153
	ds_read2_b32 v[14:15], v42 offset0:16 offset1:33
	global_load_dwordx2 v[16:17], v[16:17], off
	v_add_u16_e32 v18, 34, v4
	s_movk_i32 s0, 0xf1
	v_mul_lo_u16_sdwa v19, v18, s0 dst_sel:DWORD dst_unused:UNUSED_PAD src0_sel:BYTE_0 src1_sel:DWORD
	v_lshrrev_b16_e32 v19, 12, v19
	v_mul_lo_u16_e32 v19, 17, v19
	v_sub_u16_e32 v57, v18, v19
	v_mov_b32_e32 v34, 3
	v_add_u16_e32 v20, 51, v4
	v_lshlrev_b32_sdwa v18, v34, v57 dst_sel:DWORD dst_unused:UNUSED_PAD src0_sel:DWORD src1_sel:BYTE_0
	v_mul_lo_u16_sdwa v21, v20, s0 dst_sel:DWORD dst_unused:UNUSED_PAD src0_sel:BYTE_0 src1_sel:DWORD
	global_load_dwordx2 v[18:19], v18, s[8:9]
	v_lshrrev_b16_e32 v21, 12, v21
	v_mul_lo_u16_e32 v21, 17, v21
	v_sub_u16_e32 v59, v20, v21
	v_add_u16_e32 v24, 0x44, v4
	v_lshlrev_b32_sdwa v20, v34, v59 dst_sel:DWORD dst_unused:UNUSED_PAD src0_sel:DWORD src1_sel:BYTE_0
	global_load_dwordx2 v[20:21], v20, s[8:9]
	v_mul_lo_u16_sdwa v25, v24, s0 dst_sel:DWORD dst_unused:UNUSED_PAD src0_sel:BYTE_0 src1_sel:DWORD
	v_lshrrev_b16_e32 v25, 12, v25
	v_mul_lo_u16_e32 v25, 17, v25
	v_sub_u16_e32 v60, v24, v25
	v_add_u16_e32 v26, 0x55, v4
	v_lshlrev_b32_sdwa v24, v34, v60 dst_sel:DWORD dst_unused:UNUSED_PAD src0_sel:DWORD src1_sel:BYTE_0
	global_load_dwordx2 v[24:25], v24, s[8:9]
	v_mul_lo_u16_sdwa v27, v26, s0 dst_sel:DWORD dst_unused:UNUSED_PAD src0_sel:BYTE_0 src1_sel:DWORD
	;; [unrolled: 7-line block ×3, first 2 shown]
	v_lshrrev_b16_e32 v31, 12, v31
	v_mul_lo_u16_e32 v31, 17, v31
	v_sub_u16_e32 v63, v30, v31
	v_add_u16_e32 v35, 0x77, v4
	v_lshlrev_b32_sdwa v30, v34, v63 dst_sel:DWORD dst_unused:UNUSED_PAD src0_sel:DWORD src1_sel:BYTE_0
	v_mul_lo_u16_sdwa v36, v35, s0 dst_sel:DWORD dst_unused:UNUSED_PAD src0_sel:BYTE_0 src1_sel:DWORD
	global_load_dwordx2 v[30:31], v30, s[8:9]
	v_lshrrev_b16_e32 v36, 12, v36
	v_mul_lo_u16_e32 v36, 17, v36
	v_sub_u16_e32 v64, v35, v36
	v_lshlrev_b32_sdwa v34, v34, v64 dst_sel:DWORD dst_unused:UNUSED_PAD src0_sel:DWORD src1_sel:BYTE_0
	global_load_dwordx2 v[34:35], v34, s[8:9]
	s_waitcnt lgkmcnt(1)
	v_lshrrev_b32_e32 v53, 16, v10
	s_waitcnt lgkmcnt(0)
	v_lshrrev_b32_e32 v54, 16, v14
	ds_read2_b32 v[28:29], v9 offset0:170 offset1:187
	v_lshrrev_b32_e32 v56, 16, v11
	ds_read2_b32 v[32:33], v42 offset0:50 offset1:67
	v_lshrrev_b32_e32 v58, 16, v15
	ds_read_b32 v13, v41
	s_waitcnt lgkmcnt(2)
	v_lshrrev_b32_e32 v65, 16, v28
	ds_read_b32 v0, v12
	s_waitcnt lgkmcnt(2)
	v_lshrrev_b32_e32 v66, 16, v32
	ds_read2_b32 v[22:23], v9 offset0:34 offset1:51
	ds_read2_b32 v[36:37], v9 offset0:68 offset1:85
	;; [unrolled: 1-line block ×4, first 2 shown]
	v_lshrrev_b32_e32 v68, 16, v29
	v_lshrrev_b32_e32 v69, 16, v33
	ds_read2_b32 v[46:47], v9 offset0:102 offset1:119
	ds_read2_b32 v[48:49], v9 offset0:238 offset1:255
	;; [unrolled: 1-line block ×3, first 2 shown]
	s_waitcnt lgkmcnt(4)
	v_lshrrev_b32_e32 v71, 16, v38
	s_waitcnt lgkmcnt(3)
	v_lshrrev_b32_e32 v72, 16, v44
	v_lshrrev_b32_e32 v74, 16, v39
	v_lshrrev_b32_e32 v75, 16, v45
	s_waitcnt lgkmcnt(1)
	v_lshrrev_b32_e32 v77, 16, v48
	s_waitcnt lgkmcnt(0)
	v_lshrrev_b32_e32 v78, 16, v50
	v_lshrrev_b32_e32 v80, 16, v49
	;; [unrolled: 1-line block ×4, first 2 shown]
	s_mov_b32 s0, 0xbaee
	s_movk_i32 s1, 0x3aee
	v_lshrrev_b32_e32 v55, 16, v0
	v_lshrrev_b32_e32 v61, 16, v22
	;; [unrolled: 1-line block ×7, first 2 shown]
	s_waitcnt lgkmcnt(0)
	; wave barrier
	s_waitcnt vmcnt(6)
	v_mul_f16_sdwa v82, v53, v16 dst_sel:DWORD dst_unused:UNUSED_PAD src0_sel:DWORD src1_sel:WORD_1
	v_fma_f16 v82, v10, v16, v82
	v_mul_f16_sdwa v10, v10, v16 dst_sel:DWORD dst_unused:UNUSED_PAD src0_sel:DWORD src1_sel:WORD_1
	v_fma_f16 v10, v53, v16, -v10
	v_mul_f16_sdwa v53, v54, v17 dst_sel:DWORD dst_unused:UNUSED_PAD src0_sel:DWORD src1_sel:WORD_1
	v_fma_f16 v53, v14, v17, v53
	v_mul_f16_sdwa v14, v14, v17 dst_sel:DWORD dst_unused:UNUSED_PAD src0_sel:DWORD src1_sel:WORD_1
	v_fma_f16 v14, v54, v17, -v14
	;; [unrolled: 4-line block ×4, first 2 shown]
	s_waitcnt vmcnt(5)
	v_mul_f16_sdwa v17, v65, v18 dst_sel:DWORD dst_unused:UNUSED_PAD src0_sel:DWORD src1_sel:WORD_1
	v_fma_f16 v17, v28, v18, v17
	v_mul_f16_sdwa v28, v28, v18 dst_sel:DWORD dst_unused:UNUSED_PAD src0_sel:DWORD src1_sel:WORD_1
	v_fma_f16 v18, v65, v18, -v28
	v_mul_f16_sdwa v28, v66, v19 dst_sel:DWORD dst_unused:UNUSED_PAD src0_sel:DWORD src1_sel:WORD_1
	v_fma_f16 v28, v32, v19, v28
	v_mul_f16_sdwa v32, v32, v19 dst_sel:DWORD dst_unused:UNUSED_PAD src0_sel:DWORD src1_sel:WORD_1
	v_fma_f16 v19, v66, v19, -v32
	s_waitcnt vmcnt(4)
	v_mul_f16_sdwa v32, v68, v20 dst_sel:DWORD dst_unused:UNUSED_PAD src0_sel:DWORD src1_sel:WORD_1
	v_fma_f16 v32, v29, v20, v32
	v_mul_f16_sdwa v29, v29, v20 dst_sel:DWORD dst_unused:UNUSED_PAD src0_sel:DWORD src1_sel:WORD_1
	v_fma_f16 v20, v68, v20, -v29
	v_mul_f16_sdwa v29, v69, v21 dst_sel:DWORD dst_unused:UNUSED_PAD src0_sel:DWORD src1_sel:WORD_1
	v_fma_f16 v29, v33, v21, v29
	v_mul_f16_sdwa v33, v33, v21 dst_sel:DWORD dst_unused:UNUSED_PAD src0_sel:DWORD src1_sel:WORD_1
	v_fma_f16 v21, v69, v21, -v33
	;; [unrolled: 9-line block ×5, first 2 shown]
	s_waitcnt vmcnt(0)
	v_mul_f16_sdwa v50, v80, v34 dst_sel:DWORD dst_unused:UNUSED_PAD src0_sel:DWORD src1_sel:WORD_1
	v_fma_f16 v50, v49, v34, v50
	v_mul_f16_sdwa v49, v49, v34 dst_sel:DWORD dst_unused:UNUSED_PAD src0_sel:DWORD src1_sel:WORD_1
	v_fma_f16 v34, v80, v34, -v49
	v_mul_f16_sdwa v49, v81, v35 dst_sel:DWORD dst_unused:UNUSED_PAD src0_sel:DWORD src1_sel:WORD_1
	v_fma_f16 v49, v51, v35, v49
	v_mul_f16_sdwa v51, v51, v35 dst_sel:DWORD dst_unused:UNUSED_PAD src0_sel:DWORD src1_sel:WORD_1
	v_add_f16_e32 v56, v82, v53
	v_fma_f16 v35, v81, v35, -v51
	v_add_f16_e32 v51, v13, v82
	v_fma_f16 v13, v56, -0.5, v13
	v_sub_f16_e32 v56, v10, v14
	v_fma_f16 v58, v56, s0, v13
	v_fma_f16 v13, v56, s1, v13
	v_add_f16_e32 v56, v52, v10
	v_add_f16_e32 v10, v10, v14
	;; [unrolled: 1-line block ×4, first 2 shown]
	v_fma_f16 v10, v10, -0.5, v52
	v_sub_f16_e32 v14, v82, v53
	v_add_f16_e32 v53, v54, v16
	v_fma_f16 v52, v14, s1, v10
	v_fma_f16 v10, v14, s0, v10
	v_add_f16_e32 v14, v0, v54
	v_fma_f16 v0, v53, -0.5, v0
	v_sub_f16_e32 v53, v11, v15
	v_fma_f16 v65, v53, s0, v0
	v_fma_f16 v0, v53, s1, v0
	v_add_f16_e32 v53, v55, v11
	v_add_f16_e32 v11, v11, v15
	v_add_f16_e32 v53, v53, v15
	v_fma_f16 v11, v11, -0.5, v55
	v_sub_f16_e32 v15, v54, v16
	v_add_f16_e32 v54, v17, v28
	v_add_f16_e32 v14, v14, v16
	v_fma_f16 v16, v15, s1, v11
	v_fma_f16 v11, v15, s0, v11
	v_add_f16_e32 v15, v22, v17
	v_fma_f16 v22, v54, -0.5, v22
	v_sub_f16_e32 v54, v18, v19
	v_fma_f16 v55, v54, s0, v22
	v_fma_f16 v22, v54, s1, v22
	v_add_f16_e32 v54, v61, v18
	v_add_f16_e32 v18, v18, v19
	v_add_f16_e32 v15, v15, v28
	v_fma_f16 v18, v18, -0.5, v61
	v_sub_f16_e32 v17, v17, v28
	v_add_f16_e32 v28, v32, v29
	;; [unrolled: 14-line block ×3, first 2 shown]
	v_add_f16_e32 v18, v18, v29
	v_fma_f16 v29, v21, s1, v20
	v_fma_f16 v20, v21, s0, v20
	v_add_f16_e32 v21, v36, v33
	v_fma_f16 v32, v32, -0.5, v36
	v_sub_f16_e32 v36, v24, v25
	v_fma_f16 v66, v36, s0, v32
	v_fma_f16 v32, v36, s1, v32
	v_add_f16_e32 v36, v70, v24
	v_add_f16_e32 v24, v24, v25
	;; [unrolled: 1-line block ×4, first 2 shown]
	v_fma_f16 v24, v24, -0.5, v70
	v_sub_f16_e32 v25, v33, v38
	v_add_f16_e32 v38, v44, v39
	v_fma_f16 v33, v25, s1, v24
	v_fma_f16 v24, v25, s0, v24
	v_add_f16_e32 v25, v37, v44
	v_fma_f16 v37, v38, -0.5, v37
	v_sub_f16_e32 v38, v26, v27
	v_fma_f16 v67, v38, s0, v37
	v_fma_f16 v37, v38, s1, v37
	v_add_f16_e32 v38, v73, v26
	v_add_f16_e32 v26, v26, v27
	;; [unrolled: 1-line block ×3, first 2 shown]
	v_fma_f16 v26, v26, -0.5, v73
	v_sub_f16_e32 v27, v44, v39
	v_add_f16_e32 v44, v45, v48
	v_add_f16_e32 v25, v25, v39
	v_fma_f16 v39, v27, s1, v26
	v_fma_f16 v26, v27, s0, v26
	v_add_f16_e32 v27, v46, v45
	v_fma_f16 v44, v44, -0.5, v46
	v_sub_f16_e32 v46, v30, v31
	v_fma_f16 v68, v46, s0, v44
	v_fma_f16 v44, v46, s1, v44
	v_add_f16_e32 v46, v76, v30
	v_add_f16_e32 v30, v30, v31
	;; [unrolled: 1-line block ×4, first 2 shown]
	v_fma_f16 v30, v30, -0.5, v76
	v_sub_f16_e32 v31, v45, v48
	v_add_f16_e32 v48, v50, v49
	v_pack_b32_f16 v10, v13, v10
	v_pack_b32_f16 v13, v14, v53
	v_fma_f16 v45, v31, s1, v30
	v_fma_f16 v30, v31, s0, v30
	v_add_f16_e32 v31, v47, v50
	v_fma_f16 v47, v48, -0.5, v47
	v_sub_f16_e32 v48, v34, v35
	ds_write2_b32 v9, v10, v13 offset0:34 offset1:51
	v_pack_b32_f16 v10, v65, v16
	v_pack_b32_f16 v0, v0, v11
	v_fma_f16 v69, v48, s0, v47
	v_fma_f16 v47, v48, s1, v47
	v_add_f16_e32 v48, v79, v34
	v_add_f16_e32 v34, v34, v35
	ds_write2_b32 v9, v10, v0 offset0:68 offset1:85
	v_mov_b32_e32 v0, 2
	v_add_f16_e32 v48, v48, v35
	v_fma_f16 v34, v34, -0.5, v79
	v_sub_f16_e32 v35, v50, v49
	v_lshlrev_b32_sdwa v10, v0, v57 dst_sel:DWORD dst_unused:UNUSED_PAD src0_sel:DWORD src1_sel:BYTE_0
	v_add_f16_e32 v31, v31, v49
	v_fma_f16 v49, v35, s1, v34
	v_fma_f16 v34, v35, s0, v34
	v_pack_b32_f16 v35, v51, v56
	v_pack_b32_f16 v50, v58, v52
	v_add3_u32 v10, 0, v10, v43
	v_pack_b32_f16 v11, v15, v54
	v_pack_b32_f16 v13, v55, v19
	ds_write2_b32 v9, v35, v50 offset1:17
	ds_write2_b32 v10, v11, v13 offset0:102 offset1:119
	v_pack_b32_f16 v11, v22, v17
	ds_write_b32 v10, v11 offset:544
	v_lshlrev_b32_sdwa v10, v0, v59 dst_sel:DWORD dst_unused:UNUSED_PAD src0_sel:DWORD src1_sel:BYTE_0
	v_add3_u32 v10, 0, v10, v43
	v_pack_b32_f16 v11, v18, v28
	v_pack_b32_f16 v13, v61, v29
	ds_write2_b32 v10, v11, v13 offset0:153 offset1:170
	v_pack_b32_f16 v11, v23, v20
	ds_write_b32 v10, v11 offset:748
	v_lshlrev_b32_sdwa v10, v0, v60 dst_sel:DWORD dst_unused:UNUSED_PAD src0_sel:DWORD src1_sel:BYTE_0
	v_add3_u32 v10, 0, v10, v43
	v_pack_b32_f16 v11, v21, v36
	v_pack_b32_f16 v13, v66, v33
	ds_write2_b32 v10, v11, v13 offset0:204 offset1:221
	v_pack_b32_f16 v11, v32, v24
	ds_write_b32 v10, v11 offset:952
	v_lshlrev_b32_sdwa v10, v0, v62 dst_sel:DWORD dst_unused:UNUSED_PAD src0_sel:DWORD src1_sel:BYTE_0
	v_add3_u32 v10, 0, v10, v43
	v_pack_b32_f16 v11, v25, v38
	v_pack_b32_f16 v13, v67, v39
	v_add_u32_e32 v14, 0x200, v10
	ds_write2_b32 v14, v11, v13 offset0:127 offset1:144
	v_pack_b32_f16 v11, v37, v26
	ds_write_b32 v10, v11 offset:1156
	v_lshlrev_b32_sdwa v10, v0, v63 dst_sel:DWORD dst_unused:UNUSED_PAD src0_sel:DWORD src1_sel:BYTE_0
	v_add3_u32 v10, 0, v10, v43
	v_pack_b32_f16 v11, v27, v46
	v_pack_b32_f16 v13, v68, v45
	v_add_u32_e32 v14, 0x400, v10
	v_lshlrev_b32_sdwa v0, v0, v64 dst_sel:DWORD dst_unused:UNUSED_PAD src0_sel:DWORD src1_sel:BYTE_0
	ds_write2_b32 v14, v11, v13 offset0:50 offset1:67
	v_pack_b32_f16 v11, v44, v30
	v_add3_u32 v0, 0, v0, v43
	ds_write_b32 v10, v11 offset:1360
	v_pack_b32_f16 v10, v31, v48
	v_pack_b32_f16 v11, v69, v49
	v_add_u32_e32 v13, 0x400, v0
	ds_write2_b32 v13, v10, v11 offset0:101 offset1:118
	v_pack_b32_f16 v10, v47, v34
	ds_write_b32 v0, v10 offset:1564
	v_mul_u32_u24_e32 v0, 7, v4
	v_lshlrev_b32_e32 v13, 2, v0
	s_waitcnt lgkmcnt(0)
	; wave barrier
	s_waitcnt lgkmcnt(0)
	global_load_dwordx4 v[14:17], v13, s[8:9] offset:136
	global_load_dwordx3 v[26:28], v13, s[8:9] offset:152
	v_mul_i32_i24_e32 v0, 7, v8
	v_lshl_add_u64 v[22:23], v[0:1], 2, s[8:9]
	global_load_dwordx4 v[18:21], v[22:23], off offset:136
	ds_read2_b32 v[10:11], v9 offset0:34 offset1:51
	ds_read2_b32 v[38:39], v9 offset0:102 offset1:119
	global_load_dwordx3 v[30:32], v[22:23], off offset:152
	ds_read2_b32 v[44:45], v9 offset0:238 offset1:255
	ds_read2_b32 v[46:47], v42 offset0:50 offset1:67
	;; [unrolled: 1-line block ×5, first 2 shown]
	global_load_dwordx4 v[22:25], v13, s[8:9] offset:1088
	ds_read2_b32 v[54:55], v9 offset0:68 offset1:85
	ds_read_b32 v37, v41
	ds_read_u16 v60, v9 offset:818
	ds_read_b32 v61, v12
	ds_read2_b32 v[56:57], v9 offset0:170 offset1:187
	global_load_dwordx3 v[34:36], v13, s[8:9] offset:1104
	s_waitcnt lgkmcnt(11)
	v_lshrrev_b32_e32 v76, 16, v11
	s_waitcnt lgkmcnt(9)
	v_lshrrev_b32_e32 v0, 16, v45
	;; [unrolled: 2-line block ×5, first 2 shown]
	ds_read2_b32 v[58:59], v42 offset0:16 offset1:33
	v_lshrrev_b32_e32 v63, 16, v39
	ds_read2_b32 v[42:43], v42 offset0:118 offset1:135
	s_waitcnt lgkmcnt(2)
	v_lshrrev_b32_e32 v64, 16, v56
	v_lshrrev_b32_e32 v65, 16, v53
	s_waitcnt lgkmcnt(1)
	v_lshrrev_b32_e32 v66, 16, v58
	v_lshrrev_b32_e32 v67, 16, v47
	;; [unrolled: 3-line block ×3, first 2 shown]
	v_lshrrev_b32_e32 v71, 16, v50
	v_lshrrev_b32_e32 v72, 16, v57
	;; [unrolled: 1-line block ×6, first 2 shown]
	s_mov_b32 s0, 0xb9a8
	s_movk_i32 s1, 0x39a8
	v_lshrrev_b32_e32 v69, 16, v10
	s_waitcnt lgkmcnt(0)
	; wave barrier
	s_waitcnt vmcnt(5)
	v_mul_f16_sdwa v77, v14, v76 dst_sel:DWORD dst_unused:UNUSED_PAD src0_sel:WORD_1 src1_sel:DWORD
	v_fma_f16 v77, v14, v11, v77
	v_mul_f16_sdwa v11, v14, v11 dst_sel:DWORD dst_unused:UNUSED_PAD src0_sel:WORD_1 src1_sel:DWORD
	v_fma_f16 v11, v14, v76, -v11
	v_lshrrev_b32_e32 v14, 16, v38
	v_mul_f16_sdwa v76, v15, v14 dst_sel:DWORD dst_unused:UNUSED_PAD src0_sel:WORD_1 src1_sel:DWORD
	v_fma_f16 v76, v15, v38, v76
	v_mul_f16_sdwa v38, v15, v38 dst_sel:DWORD dst_unused:UNUSED_PAD src0_sel:WORD_1 src1_sel:DWORD
	v_fma_f16 v14, v15, v14, -v38
	v_lshrrev_b32_e32 v15, 16, v51
	v_mul_f16_sdwa v38, v16, v15 dst_sel:DWORD dst_unused:UNUSED_PAD src0_sel:WORD_1 src1_sel:DWORD
	v_fma_f16 v38, v16, v51, v38
	v_mul_f16_sdwa v51, v16, v51 dst_sel:DWORD dst_unused:UNUSED_PAD src0_sel:WORD_1 src1_sel:DWORD
	v_fma_f16 v15, v16, v15, -v51
	v_mul_f16_sdwa v16, v60, v17 dst_sel:DWORD dst_unused:UNUSED_PAD src0_sel:DWORD src1_sel:WORD_1
	v_mul_f16_sdwa v51, v17, v52 dst_sel:DWORD dst_unused:UNUSED_PAD src0_sel:WORD_1 src1_sel:DWORD
	v_fma_f16 v16, v17, v52, v16
	v_fma_f16 v17, v60, v17, -v51
	s_waitcnt vmcnt(4)
	v_mul_f16_sdwa v51, v0, v26 dst_sel:DWORD dst_unused:UNUSED_PAD src0_sel:DWORD src1_sel:WORD_1
	v_fma_f16 v51, v45, v26, v51
	v_mul_f16_sdwa v45, v45, v26 dst_sel:DWORD dst_unused:UNUSED_PAD src0_sel:DWORD src1_sel:WORD_1
	v_fma_f16 v0, v0, v26, -v45
	v_mul_f16_sdwa v26, v29, v27 dst_sel:DWORD dst_unused:UNUSED_PAD src0_sel:DWORD src1_sel:WORD_1
	v_mul_f16_sdwa v45, v46, v27 dst_sel:DWORD dst_unused:UNUSED_PAD src0_sel:DWORD src1_sel:WORD_1
	v_fma_f16 v26, v46, v27, v26
	v_fma_f16 v27, v29, v27, -v45
	v_mul_f16_sdwa v29, v33, v28 dst_sel:DWORD dst_unused:UNUSED_PAD src0_sel:DWORD src1_sel:WORD_1
	v_mul_f16_sdwa v45, v49, v28 dst_sel:DWORD dst_unused:UNUSED_PAD src0_sel:DWORD src1_sel:WORD_1
	v_fma_f16 v29, v49, v28, v29
	v_fma_f16 v28, v33, v28, -v45
	s_waitcnt vmcnt(3)
	v_mul_f16_sdwa v33, v62, v18 dst_sel:DWORD dst_unused:UNUSED_PAD src0_sel:DWORD src1_sel:WORD_1
	v_mul_f16_sdwa v45, v54, v18 dst_sel:DWORD dst_unused:UNUSED_PAD src0_sel:DWORD src1_sel:WORD_1
	v_fma_f16 v33, v54, v18, v33
	v_fma_f16 v18, v62, v18, -v45
	v_mul_f16_sdwa v45, v63, v19 dst_sel:DWORD dst_unused:UNUSED_PAD src0_sel:DWORD src1_sel:WORD_1
	v_fma_f16 v45, v39, v19, v45
	v_mul_f16_sdwa v39, v39, v19 dst_sel:DWORD dst_unused:UNUSED_PAD src0_sel:DWORD src1_sel:WORD_1
	v_fma_f16 v19, v63, v19, -v39
	v_mul_f16_sdwa v39, v64, v20 dst_sel:DWORD dst_unused:UNUSED_PAD src0_sel:DWORD src1_sel:WORD_1
	v_mul_f16_sdwa v46, v56, v20 dst_sel:DWORD dst_unused:UNUSED_PAD src0_sel:DWORD src1_sel:WORD_1
	v_fma_f16 v39, v56, v20, v39
	v_fma_f16 v20, v64, v20, -v46
	v_mul_f16_sdwa v46, v65, v21 dst_sel:DWORD dst_unused:UNUSED_PAD src0_sel:DWORD src1_sel:WORD_1
	v_mul_f16_sdwa v49, v53, v21 dst_sel:DWORD dst_unused:UNUSED_PAD src0_sel:DWORD src1_sel:WORD_1
	v_fma_f16 v46, v53, v21, v46
	v_fma_f16 v21, v65, v21, -v49
	s_waitcnt vmcnt(2)
	v_mul_f16_sdwa v49, v66, v30 dst_sel:DWORD dst_unused:UNUSED_PAD src0_sel:DWORD src1_sel:WORD_1
	v_mul_f16_sdwa v52, v58, v30 dst_sel:DWORD dst_unused:UNUSED_PAD src0_sel:DWORD src1_sel:WORD_1
	v_fma_f16 v49, v58, v30, v49
	v_fma_f16 v30, v66, v30, -v52
	v_mul_f16_sdwa v52, v67, v31 dst_sel:DWORD dst_unused:UNUSED_PAD src0_sel:DWORD src1_sel:WORD_1
	v_fma_f16 v52, v47, v31, v52
	v_mul_f16_sdwa v47, v47, v31 dst_sel:DWORD dst_unused:UNUSED_PAD src0_sel:DWORD src1_sel:WORD_1
	v_fma_f16 v31, v67, v31, -v47
	v_mul_f16_sdwa v47, v68, v32 dst_sel:DWORD dst_unused:UNUSED_PAD src0_sel:DWORD src1_sel:WORD_1
	v_fma_f16 v47, v42, v32, v47
	v_mul_f16_sdwa v42, v42, v32 dst_sel:DWORD dst_unused:UNUSED_PAD src0_sel:DWORD src1_sel:WORD_1
	v_fma_f16 v32, v68, v32, -v42
	s_waitcnt vmcnt(1)
	v_mul_f16_sdwa v42, v70, v22 dst_sel:DWORD dst_unused:UNUSED_PAD src0_sel:DWORD src1_sel:WORD_1
	v_mul_f16_sdwa v53, v55, v22 dst_sel:DWORD dst_unused:UNUSED_PAD src0_sel:DWORD src1_sel:WORD_1
	v_fma_f16 v42, v55, v22, v42
	v_fma_f16 v22, v70, v22, -v53
	v_mul_f16_sdwa v53, v71, v23 dst_sel:DWORD dst_unused:UNUSED_PAD src0_sel:DWORD src1_sel:WORD_1
	v_fma_f16 v53, v50, v23, v53
	v_mul_f16_sdwa v50, v50, v23 dst_sel:DWORD dst_unused:UNUSED_PAD src0_sel:DWORD src1_sel:WORD_1
	v_fma_f16 v23, v71, v23, -v50
	v_mul_f16_sdwa v50, v72, v24 dst_sel:DWORD dst_unused:UNUSED_PAD src0_sel:DWORD src1_sel:WORD_1
	v_mul_f16_sdwa v54, v57, v24 dst_sel:DWORD dst_unused:UNUSED_PAD src0_sel:DWORD src1_sel:WORD_1
	v_fma_f16 v50, v57, v24, v50
	v_fma_f16 v24, v72, v24, -v54
	v_mul_f16_sdwa v54, v13, v25 dst_sel:DWORD dst_unused:UNUSED_PAD src0_sel:DWORD src1_sel:WORD_1
	v_fma_f16 v54, v44, v25, v54
	v_mul_f16_sdwa v44, v44, v25 dst_sel:DWORD dst_unused:UNUSED_PAD src0_sel:DWORD src1_sel:WORD_1
	v_fma_f16 v13, v13, v25, -v44
	s_waitcnt vmcnt(0)
	v_mul_f16_sdwa v25, v73, v34 dst_sel:DWORD dst_unused:UNUSED_PAD src0_sel:DWORD src1_sel:WORD_1
	v_mul_f16_sdwa v44, v59, v34 dst_sel:DWORD dst_unused:UNUSED_PAD src0_sel:DWORD src1_sel:WORD_1
	v_fma_f16 v25, v59, v34, v25
	v_fma_f16 v34, v73, v34, -v44
	v_mul_f16_sdwa v44, v74, v35 dst_sel:DWORD dst_unused:UNUSED_PAD src0_sel:DWORD src1_sel:WORD_1
	v_fma_f16 v44, v48, v35, v44
	v_mul_f16_sdwa v48, v48, v35 dst_sel:DWORD dst_unused:UNUSED_PAD src0_sel:DWORD src1_sel:WORD_1
	v_fma_f16 v35, v74, v35, -v48
	v_mul_f16_sdwa v48, v75, v36 dst_sel:DWORD dst_unused:UNUSED_PAD src0_sel:DWORD src1_sel:WORD_1
	v_fma_f16 v48, v43, v36, v48
	v_mul_f16_sdwa v43, v43, v36 dst_sel:DWORD dst_unused:UNUSED_PAD src0_sel:DWORD src1_sel:WORD_1
	v_fma_f16 v36, v75, v36, -v43
	v_lshrrev_b32_e32 v43, 16, v37
	v_sub_f16_e32 v16, v37, v16
	v_sub_f16_e32 v27, v14, v27
	;; [unrolled: 1-line block ×6, first 2 shown]
	v_fma_f16 v14, v14, 2.0, -v27
	v_sub_f16_e32 v0, v11, v0
	v_sub_f16_e32 v29, v38, v29
	v_fma_f16 v15, v15, 2.0, -v28
	v_add_f16_e32 v27, v16, v27
	v_add_f16_e32 v28, v51, v28
	v_fma_f16 v37, v37, 2.0, -v16
	v_fma_f16 v55, v76, 2.0, -v26
	;; [unrolled: 1-line block ×4, first 2 shown]
	v_sub_f16_e32 v26, v17, v26
	v_fma_f16 v16, v16, 2.0, -v27
	v_sub_f16_e32 v29, v0, v29
	v_fma_f16 v51, v51, 2.0, -v28
	v_fma_f16 v43, v43, 2.0, -v17
	;; [unrolled: 1-line block ×5, first 2 shown]
	v_fma_f16 v57, v51, s0, v16
	v_fma_f16 v58, v0, s0, v17
	;; [unrolled: 1-line block ×7, first 2 shown]
	v_lshrrev_b32_e32 v57, 16, v61
	v_sub_f16_e32 v46, v61, v46
	v_sub_f16_e32 v21, v57, v21
	;; [unrolled: 1-line block ×8, first 2 shown]
	v_fma_f16 v28, v28, s0, v58
	v_fma_f16 v58, v61, 2.0, -v46
	v_fma_f16 v57, v57, 2.0, -v21
	;; [unrolled: 1-line block ×8, first 2 shown]
	v_add_f16_e32 v31, v46, v31
	v_sub_f16_e32 v52, v21, v52
	v_add_f16_e32 v32, v49, v32
	v_sub_f16_e32 v47, v30, v47
	v_sub_f16_e32 v55, v37, v55
	;; [unrolled: 1-line block ×7, first 2 shown]
	v_fma_f16 v46, v46, 2.0, -v31
	v_fma_f16 v21, v21, 2.0, -v52
	v_sub_f16_e32 v39, v33, v39
	v_sub_f16_e32 v20, v18, v20
	v_fma_f16 v49, v49, 2.0, -v32
	v_fma_f16 v30, v30, 2.0, -v47
	;; [unrolled: 1-line block ×7, first 2 shown]
	v_add_f16_e32 v15, v55, v15
	v_sub_f16_e32 v38, v14, v38
	v_fma_f16 v58, v58, 2.0, -v45
	v_fma_f16 v57, v57, 2.0, -v19
	;; [unrolled: 1-line block ×4, first 2 shown]
	v_fma_f16 v59, v49, s0, v46
	v_fma_f16 v60, v30, s0, v21
	v_pack_b32_f16 v0, v0, v51
	v_sub_f16_e32 v56, v37, v56
	v_sub_f16_e32 v11, v43, v11
	v_fma_f16 v55, v55, 2.0, -v15
	v_fma_f16 v14, v14, 2.0, -v38
	v_sub_f16_e32 v33, v58, v33
	v_sub_f16_e32 v18, v57, v18
	v_fma_f16 v30, v30, s1, v59
	v_fma_f16 v49, v49, s0, v60
	;; [unrolled: 1-line block ×4, first 2 shown]
	v_sub_f16_e32 v54, v10, v54
	v_sub_f16_e32 v13, v69, v13
	v_sub_f16_e32 v44, v53, v44
	v_sub_f16_e32 v35, v23, v35
	v_sub_f16_e32 v25, v42, v25
	v_sub_f16_e32 v34, v22, v34
	v_sub_f16_e32 v48, v50, v48
	v_sub_f16_e32 v36, v24, v36
	ds_write_b32 v9, v0 offset:1020
	v_pack_b32_f16 v0, v15, v38
	v_fma_f16 v37, v37, 2.0, -v56
	v_fma_f16 v43, v43, 2.0, -v11
	;; [unrolled: 1-line block ×9, first 2 shown]
	v_add_f16_e32 v20, v45, v20
	v_sub_f16_e32 v39, v19, v39
	v_fma_f16 v47, v47, s1, v59
	v_fma_f16 v32, v32, s0, v60
	v_fma_f16 v10, v10, 2.0, -v54
	v_fma_f16 v59, v69, 2.0, -v13
	;; [unrolled: 1-line block ×8, first 2 shown]
	v_pack_b32_f16 v14, v55, v14
	v_pack_b32_f16 v11, v56, v11
	ds_write_b32 v9, v0 offset:1224
	v_pack_b32_f16 v0, v29, v28
	v_fma_f16 v45, v45, 2.0, -v20
	v_fma_f16 v19, v19, 2.0, -v39
	;; [unrolled: 1-line block ×4, first 2 shown]
	v_sub_f16_e32 v53, v10, v53
	v_sub_f16_e32 v23, v59, v23
	v_add_f16_e32 v35, v54, v35
	v_sub_f16_e32 v44, v13, v44
	v_sub_f16_e32 v50, v42, v50
	;; [unrolled: 1-line block ×3, first 2 shown]
	v_add_f16_e32 v36, v25, v36
	v_sub_f16_e32 v48, v34, v48
	v_pack_b32_f16 v37, v37, v43
	v_pack_b32_f16 v16, v16, v17
	ds_write_b32 v9, v14 offset:408
	v_pack_b32_f16 v14, v27, v26
	ds_write_b32 v9, v11 offset:816
	ds_write_b32 v9, v0 offset:1428
	v_pack_b32_f16 v0, v58, v57
	v_pack_b32_f16 v11, v46, v21
	v_fma_f16 v10, v10, 2.0, -v53
	v_fma_f16 v59, v59, 2.0, -v23
	v_fma_f16 v54, v54, 2.0, -v35
	v_fma_f16 v13, v13, 2.0, -v44
	v_fma_f16 v42, v42, 2.0, -v50
	v_fma_f16 v22, v22, 2.0, -v24
	v_fma_f16 v25, v25, 2.0, -v36
	v_fma_f16 v34, v34, 2.0, -v48
	ds_write_b32 v9, v37
	ds_write_b32 v9, v16 offset:204
	ds_write_b32 v9, v14 offset:612
	ds_write2_b32 v12, v0, v11 offset1:51
	v_pack_b32_f16 v0, v45, v19
	v_pack_b32_f16 v11, v31, v52
	v_sub_f16_e32 v42, v10, v42
	v_sub_f16_e32 v22, v59, v22
	v_fma_f16 v60, v25, s0, v54
	v_fma_f16 v61, v34, s0, v13
	ds_write2_b32 v12, v0, v11 offset0:102 offset1:153
	v_pack_b32_f16 v0, v33, v18
	v_pack_b32_f16 v11, v30, v49
	v_fma_f16 v10, v10, 2.0, -v42
	v_fma_f16 v59, v59, 2.0, -v22
	v_fma_f16 v34, v34, s1, v60
	v_fma_f16 v25, v25, s0, v61
	ds_write2_b32 v12, v0, v11 offset0:204 offset1:255
	v_pack_b32_f16 v0, v20, v39
	v_pack_b32_f16 v11, v47, v32
	v_add_u32_e32 v12, 0x400, v12
	v_fma_f16 v54, v54, 2.0, -v34
	v_fma_f16 v13, v13, 2.0, -v25
	v_add_f16_e32 v24, v53, v24
	v_sub_f16_e32 v50, v23, v50
	v_fma_f16 v60, v36, s1, v35
	v_fma_f16 v61, v48, s1, v44
	ds_write2_b32 v12, v0, v11 offset0:50 offset1:101
	v_pack_b32_f16 v0, v10, v59
	v_fma_f16 v53, v53, 2.0, -v24
	v_fma_f16 v23, v23, 2.0, -v50
	v_fma_f16 v48, v48, s1, v60
	v_fma_f16 v36, v36, s0, v61
	ds_write_b32 v9, v0 offset:136
	v_pack_b32_f16 v0, v54, v13
	v_fma_f16 v35, v35, 2.0, -v48
	v_fma_f16 v44, v44, 2.0, -v36
	ds_write_b32 v9, v0 offset:340
	v_pack_b32_f16 v0, v53, v23
	ds_write_b32 v9, v0 offset:544
	v_pack_b32_f16 v0, v35, v44
	;; [unrolled: 2-line block ×6, first 2 shown]
	ds_write_b32 v9, v0 offset:1564
	s_waitcnt lgkmcnt(0)
	; wave barrier
	s_waitcnt lgkmcnt(0)
	ds_read_b32 v0, v41
	v_sub_u32_e32 v12, v40, v5
	v_cmp_ne_u32_e64 s[0:1], 0, v4
                                        ; implicit-def: $vgpr15
                                        ; implicit-def: $vgpr13
                                        ; implicit-def: $vgpr14
                                        ; implicit-def: $vgpr10_vgpr11
	s_and_saveexec_b64 s[4:5], s[0:1]
	s_xor_b64 s[0:1], exec, s[4:5]
	s_cbranch_execz .LBB0_16
; %bb.15:
	v_mov_b32_e32 v5, v1
	v_lshl_add_u64 v[10:11], v[4:5], 2, s[8:9]
	global_load_dword v1, v[10:11], off offset:1564
	ds_read_b32 v9, v12 offset:1632
	s_waitcnt lgkmcnt(0)
	v_add_f16_sdwa v11, v9, v0 dst_sel:DWORD dst_unused:UNUSED_PAD src0_sel:WORD_1 src1_sel:WORD_1
	v_sub_f16_e32 v13, v0, v9
	v_add_f16_e32 v10, v9, v0
	v_sub_f16_sdwa v0, v0, v9 dst_sel:DWORD dst_unused:UNUSED_PAD src0_sel:WORD_1 src1_sel:WORD_1
	v_mul_f16_e32 v9, 0.5, v11
	v_mul_f16_e32 v11, 0.5, v13
	;; [unrolled: 1-line block ×3, first 2 shown]
	s_waitcnt vmcnt(0)
	v_lshrrev_b32_e32 v13, 16, v1
	v_mul_f16_e32 v15, v13, v11
	v_fma_f16 v14, v9, v13, v0
	v_fma_f16 v0, v9, v13, -v0
	v_fma_f16 v13, v10, 0.5, v15
	v_fma_f16 v10, v10, 0.5, -v15
	v_fma_f16 v15, -v1, v11, v0
	v_fma_f16 v0, v1, v9, v13
	v_fma_f16 v14, -v1, v11, v14
	v_fma_f16 v13, -v1, v9, v10
	ds_write_b16 v41, v0
	v_mov_b64_e32 v[10:11], v[4:5]
                                        ; implicit-def: $vgpr0
.LBB0_16:
	s_andn2_saveexec_b64 s[0:1], s[0:1]
	s_cbranch_execz .LBB0_18
; %bb.17:
	ds_read_u16 v1, v40 offset:818
	s_waitcnt lgkmcnt(1)
	v_add_f16_sdwa v5, v0, v0 dst_sel:DWORD dst_unused:UNUSED_PAD src0_sel:WORD_1 src1_sel:DWORD
	v_sub_f16_sdwa v13, v0, v0 dst_sel:DWORD dst_unused:UNUSED_PAD src0_sel:DWORD src1_sel:WORD_1
	v_mov_b64_e32 v[10:11], 0
	v_mov_b32_e32 v14, 0
	s_waitcnt lgkmcnt(0)
	v_xor_b32_e32 v0, 0x8000, v1
	v_mov_b32_e32 v15, 0
	ds_write_b16 v41, v5
	ds_write_b16 v40, v0 offset:818
.LBB0_18:
	s_or_b64 exec, exec, s[0:1]
	v_mov_b32_e32 v9, 0
	s_waitcnt lgkmcnt(0)
	v_lshl_add_u64 v[0:1], v[8:9], 2, s[8:9]
	global_load_dword v5, v[0:1], off offset:1564
	s_add_u32 s0, s8, 0x61c
	s_addc_u32 s1, s9, 0
	v_lshl_add_u64 v[0:1], v[10:11], 2, s[0:1]
	global_load_dword v10, v[0:1], off offset:136
	global_load_dword v11, v[0:1], off offset:204
	s_mov_b32 s1, 0x5040100
	v_perm_b32 v13, v15, v13, s1
	ds_write_b16 v41, v14 offset:2
	v_lshl_add_u32 v8, v8, 2, v40
	ds_write_b32 v12, v13 offset:1632
	ds_read_b32 v13, v8
	ds_read_b32 v14, v12 offset:1564
	global_load_dword v15, v[0:1], off offset:272
	global_load_dword v16, v[0:1], off offset:340
	;; [unrolled: 1-line block ×5, first 2 shown]
	s_mov_b32 s0, 0xffff
	s_waitcnt lgkmcnt(0)
	v_pk_add_f16 v20, v13, v14 neg_lo:[0,1] neg_hi:[0,1]
	v_pk_add_f16 v13, v13, v14
	s_nop 0
	v_bfi_b32 v14, s0, v20, v13
	v_bfi_b32 v13, s0, v13, v20
	v_pk_mul_f16 v14, v14, 0.5 op_sel_hi:[1,0]
	v_pk_mul_f16 v13, v13, 0.5 op_sel_hi:[1,0]
	s_waitcnt vmcnt(7)
	v_pk_mul_f16 v21, v5, v14 op_sel_hi:[0,1]
	v_pk_fma_f16 v20, v5, v14, v13 op_sel:[1,0,0]
	v_pk_fma_f16 v22, v5, v14, v13 op_sel:[1,0,0] neg_lo:[1,0,0] neg_hi:[1,0,0]
	v_pk_fma_f16 v5, v5, v14, v13 op_sel:[1,0,0] neg_lo:[0,0,1] neg_hi:[0,0,1]
	v_pk_add_f16 v13, v20, v21 op_sel:[0,1] op_sel_hi:[1,0]
	v_pk_add_f16 v14, v20, v21 op_sel:[0,1] op_sel_hi:[1,0] neg_lo:[0,1] neg_hi:[0,1]
	v_pk_add_f16 v20, v22, v21 op_sel:[0,1] op_sel_hi:[1,0] neg_lo:[0,1] neg_hi:[0,1]
	;; [unrolled: 1-line block ×3, first 2 shown]
	v_bfi_b32 v13, s0, v13, v14
	v_bfi_b32 v5, s0, v20, v5
	ds_write_b32 v8, v13
	ds_write_b32 v12, v5 offset:1564
	ds_read_b32 v5, v41 offset:136
	ds_read_b32 v8, v12 offset:1496
	s_waitcnt lgkmcnt(0)
	v_pk_add_f16 v13, v5, v8 neg_lo:[0,1] neg_hi:[0,1]
	v_pk_add_f16 v5, v5, v8
	s_nop 0
	v_bfi_b32 v8, s0, v13, v5
	v_bfi_b32 v5, s0, v5, v13
	v_pk_mul_f16 v8, v8, 0.5 op_sel_hi:[1,0]
	v_pk_mul_f16 v5, v5, 0.5 op_sel_hi:[1,0]
	s_waitcnt vmcnt(6)
	v_pk_mul_f16 v14, v10, v8 op_sel_hi:[0,1]
	v_pk_fma_f16 v13, v10, v8, v5 op_sel:[1,0,0]
	v_pk_fma_f16 v20, v10, v8, v5 op_sel:[1,0,0] neg_lo:[1,0,0] neg_hi:[1,0,0]
	v_pk_fma_f16 v5, v10, v8, v5 op_sel:[1,0,0] neg_lo:[0,0,1] neg_hi:[0,0,1]
	v_pk_add_f16 v8, v13, v14 op_sel:[0,1] op_sel_hi:[1,0]
	v_pk_add_f16 v10, v13, v14 op_sel:[0,1] op_sel_hi:[1,0] neg_lo:[0,1] neg_hi:[0,1]
	v_pk_add_f16 v13, v20, v14 op_sel:[0,1] op_sel_hi:[1,0] neg_lo:[0,1] neg_hi:[0,1]
	v_pk_add_f16 v5, v5, v14 op_sel:[0,1] op_sel_hi:[1,0] neg_lo:[0,1] neg_hi:[0,1]
	v_bfi_b32 v8, s0, v8, v10
	v_bfi_b32 v5, s0, v13, v5
	ds_write_b32 v41, v8 offset:136
	ds_write_b32 v12, v5 offset:1496
	ds_read_b32 v5, v41 offset:204
	ds_read_b32 v8, v12 offset:1428
	s_waitcnt lgkmcnt(0)
	v_pk_add_f16 v10, v5, v8 neg_lo:[0,1] neg_hi:[0,1]
	v_pk_add_f16 v5, v5, v8
	s_nop 0
	v_bfi_b32 v8, s0, v10, v5
	v_bfi_b32 v5, s0, v5, v10
	v_pk_mul_f16 v8, v8, 0.5 op_sel_hi:[1,0]
	v_pk_mul_f16 v5, v5, 0.5 op_sel_hi:[1,0]
	s_waitcnt vmcnt(5)
	v_pk_mul_f16 v13, v11, v8 op_sel_hi:[0,1]
	v_pk_fma_f16 v10, v11, v8, v5 op_sel:[1,0,0]
	v_pk_fma_f16 v14, v11, v8, v5 op_sel:[1,0,0] neg_lo:[1,0,0] neg_hi:[1,0,0]
	v_pk_fma_f16 v5, v11, v8, v5 op_sel:[1,0,0] neg_lo:[0,0,1] neg_hi:[0,0,1]
	v_pk_add_f16 v8, v10, v13 op_sel:[0,1] op_sel_hi:[1,0]
	v_pk_add_f16 v10, v10, v13 op_sel:[0,1] op_sel_hi:[1,0] neg_lo:[0,1] neg_hi:[0,1]
	v_pk_add_f16 v11, v14, v13 op_sel:[0,1] op_sel_hi:[1,0] neg_lo:[0,1] neg_hi:[0,1]
	v_pk_add_f16 v5, v5, v13 op_sel:[0,1] op_sel_hi:[1,0] neg_lo:[0,1] neg_hi:[0,1]
	v_bfi_b32 v8, s0, v8, v10
	v_bfi_b32 v5, s0, v11, v5
	ds_write_b32 v41, v8 offset:204
	;; [unrolled: 23-line block ×4, first 2 shown]
	ds_write_b32 v12, v5 offset:1292
	ds_read_b32 v5, v41 offset:408
	ds_read_b32 v8, v12 offset:1224
	global_load_dword v10, v[0:1], off offset:612
	s_waitcnt lgkmcnt(0)
	v_pk_add_f16 v11, v5, v8 neg_lo:[0,1] neg_hi:[0,1]
	v_pk_add_f16 v5, v5, v8
	s_nop 0
	v_bfi_b32 v8, s0, v11, v5
	v_bfi_b32 v5, s0, v5, v11
	v_pk_mul_f16 v8, v8, 0.5 op_sel_hi:[1,0]
	v_pk_mul_f16 v5, v5, 0.5 op_sel_hi:[1,0]
	s_waitcnt vmcnt(3)
	v_pk_mul_f16 v13, v17, v8 op_sel_hi:[0,1]
	v_pk_fma_f16 v11, v17, v8, v5 op_sel:[1,0,0]
	v_pk_fma_f16 v14, v17, v8, v5 op_sel:[1,0,0] neg_lo:[1,0,0] neg_hi:[1,0,0]
	v_pk_fma_f16 v5, v17, v8, v5 op_sel:[1,0,0] neg_lo:[0,0,1] neg_hi:[0,0,1]
	v_pk_add_f16 v8, v11, v13 op_sel:[0,1] op_sel_hi:[1,0]
	v_pk_add_f16 v11, v11, v13 op_sel:[0,1] op_sel_hi:[1,0] neg_lo:[0,1] neg_hi:[0,1]
	v_pk_add_f16 v14, v14, v13 op_sel:[0,1] op_sel_hi:[1,0] neg_lo:[0,1] neg_hi:[0,1]
	;; [unrolled: 1-line block ×3, first 2 shown]
	v_bfi_b32 v8, s0, v8, v11
	v_bfi_b32 v5, s0, v14, v5
	ds_write_b32 v41, v8 offset:408
	ds_write_b32 v12, v5 offset:1224
	ds_read_b32 v5, v41 offset:476
	ds_read_b32 v8, v12 offset:1156
	global_load_dword v11, v[0:1], off offset:680
	s_waitcnt lgkmcnt(0)
	v_pk_add_f16 v13, v5, v8 neg_lo:[0,1] neg_hi:[0,1]
	v_pk_add_f16 v5, v5, v8
	s_nop 0
	v_bfi_b32 v8, s0, v13, v5
	v_bfi_b32 v5, s0, v5, v13
	v_pk_mul_f16 v8, v8, 0.5 op_sel_hi:[1,0]
	v_pk_mul_f16 v5, v5, 0.5 op_sel_hi:[1,0]
	s_waitcnt vmcnt(3)
	v_pk_mul_f16 v14, v18, v8 op_sel_hi:[0,1]
	v_pk_fma_f16 v13, v18, v8, v5 op_sel:[1,0,0]
	v_pk_fma_f16 v15, v18, v8, v5 op_sel:[1,0,0] neg_lo:[1,0,0] neg_hi:[1,0,0]
	v_pk_fma_f16 v5, v18, v8, v5 op_sel:[1,0,0] neg_lo:[0,0,1] neg_hi:[0,0,1]
	v_pk_add_f16 v8, v13, v14 op_sel:[0,1] op_sel_hi:[1,0]
	v_pk_add_f16 v13, v13, v14 op_sel:[0,1] op_sel_hi:[1,0] neg_lo:[0,1] neg_hi:[0,1]
	v_pk_add_f16 v15, v15, v14 op_sel:[0,1] op_sel_hi:[1,0] neg_lo:[0,1] neg_hi:[0,1]
	;; [unrolled: 1-line block ×3, first 2 shown]
	v_bfi_b32 v8, s0, v8, v13
	v_bfi_b32 v5, s0, v15, v5
	ds_write_b32 v41, v8 offset:476
	ds_write_b32 v12, v5 offset:1156
	ds_read_b32 v5, v41 offset:544
	ds_read_b32 v8, v12 offset:1088
	global_load_dword v0, v[0:1], off offset:748
	s_waitcnt lgkmcnt(0)
	v_pk_add_f16 v13, v5, v8 neg_lo:[0,1] neg_hi:[0,1]
	v_pk_add_f16 v1, v5, v8
	s_nop 0
	v_bfi_b32 v5, s0, v13, v1
	v_bfi_b32 v1, s0, v1, v13
	v_pk_mul_f16 v5, v5, 0.5 op_sel_hi:[1,0]
	v_pk_mul_f16 v1, v1, 0.5 op_sel_hi:[1,0]
	s_waitcnt vmcnt(3)
	v_pk_mul_f16 v13, v19, v5 op_sel_hi:[0,1]
	v_pk_fma_f16 v8, v19, v5, v1 op_sel:[1,0,0]
	s_nop 0
	v_pk_add_f16 v14, v8, v13 op_sel:[0,1] op_sel_hi:[1,0]
	v_pk_add_f16 v8, v8, v13 op_sel:[0,1] op_sel_hi:[1,0] neg_lo:[0,1] neg_hi:[0,1]
	s_nop 0
	v_bfi_b32 v8, s0, v14, v8
	ds_write_b32 v41, v8 offset:544
	v_pk_fma_f16 v8, v19, v5, v1 op_sel:[1,0,0] neg_lo:[1,0,0] neg_hi:[1,0,0]
	v_pk_fma_f16 v1, v19, v5, v1 op_sel:[1,0,0] neg_lo:[0,0,1] neg_hi:[0,0,1]
	v_pk_add_f16 v8, v8, v13 op_sel:[0,1] op_sel_hi:[1,0] neg_lo:[0,1] neg_hi:[0,1]
	v_pk_add_f16 v1, v1, v13 op_sel:[0,1] op_sel_hi:[1,0] neg_lo:[0,1] neg_hi:[0,1]
	s_nop 0
	v_bfi_b32 v1, s0, v8, v1
	ds_write_b32 v12, v1 offset:1088
	v_xor_b32_e32 v1, 0xff, v4
	v_lshl_add_u32 v1, v1, 2, v40
	ds_read_b32 v5, v41 offset:612
	ds_read_b32 v8, v1
	s_waitcnt lgkmcnt(0)
	v_pk_add_f16 v13, v5, v8 neg_lo:[0,1] neg_hi:[0,1]
	v_pk_add_f16 v5, v5, v8
	s_nop 0
	v_bfi_b32 v8, s0, v13, v5
	v_pk_mul_f16 v8, v8, 0.5 op_sel_hi:[1,0]
	v_bfi_b32 v5, s0, v5, v13
	s_waitcnt vmcnt(2)
	v_pk_mul_f16 v14, v10, v8 op_sel:[1,0]
	v_pk_mul_f16 v13, v5, 0.5 op_sel_hi:[1,0]
	v_pk_fma_f16 v5, v5, 0.5, v14 op_sel_hi:[1,0,1]
	v_pk_mul_f16 v8, v10, v8 op_sel_hi:[0,1]
	v_pk_add_f16 v10, v5, v8 op_sel:[0,1] op_sel_hi:[1,0]
	v_pk_add_f16 v5, v5, v8 op_sel:[0,1] op_sel_hi:[1,0] neg_lo:[0,1] neg_hi:[0,1]
	s_nop 0
	v_bfi_b32 v5, s0, v10, v5
	ds_write_b32 v41, v5 offset:612
	v_bfi_b32 v5, s0, v13, v14
	v_bfi_b32 v10, s0, v14, v13
	v_pk_add_f16 v5, v5, v10 neg_lo:[0,1] neg_hi:[0,1]
	s_nop 0
	v_pk_add_f16 v5, v5, v8 op_sel:[0,1] op_sel_hi:[1,0] neg_lo:[0,1] neg_hi:[0,1]
	ds_write_b32 v1, v5
	ds_read_b32 v1, v41 offset:680
	ds_read_b32 v5, v12 offset:952
	s_waitcnt lgkmcnt(0)
	v_pk_add_f16 v8, v1, v5 neg_lo:[0,1] neg_hi:[0,1]
	v_pk_add_f16 v1, v1, v5
	s_nop 0
	v_bfi_b32 v5, s0, v8, v1
	v_bfi_b32 v1, s0, v1, v8
	v_pk_mul_f16 v5, v5, 0.5 op_sel_hi:[1,0]
	v_pk_mul_f16 v1, v1, 0.5 op_sel_hi:[1,0]
	s_waitcnt vmcnt(1)
	v_pk_mul_f16 v10, v11, v5 op_sel_hi:[0,1]
	v_pk_fma_f16 v8, v11, v5, v1 op_sel:[1,0,0]
	s_nop 0
	v_pk_add_f16 v13, v8, v10 op_sel:[0,1] op_sel_hi:[1,0]
	v_pk_add_f16 v8, v8, v10 op_sel:[0,1] op_sel_hi:[1,0] neg_lo:[0,1] neg_hi:[0,1]
	s_nop 0
	v_bfi_b32 v8, s0, v13, v8
	ds_write_b32 v41, v8 offset:680
	v_pk_fma_f16 v8, v11, v5, v1 op_sel:[1,0,0] neg_lo:[1,0,0] neg_hi:[1,0,0]
	v_pk_fma_f16 v1, v11, v5, v1 op_sel:[1,0,0] neg_lo:[0,0,1] neg_hi:[0,0,1]
	v_pk_add_f16 v8, v8, v10 op_sel:[0,1] op_sel_hi:[1,0] neg_lo:[0,1] neg_hi:[0,1]
	v_pk_add_f16 v1, v1, v10 op_sel:[0,1] op_sel_hi:[1,0] neg_lo:[0,1] neg_hi:[0,1]
	s_nop 0
	v_bfi_b32 v1, s0, v8, v1
	ds_write_b32 v12, v1 offset:952
	ds_read_b32 v1, v41 offset:748
	ds_read_b32 v5, v12 offset:884
	s_waitcnt lgkmcnt(0)
	v_pk_add_f16 v8, v1, v5 neg_lo:[0,1] neg_hi:[0,1]
	v_pk_add_f16 v1, v1, v5
	s_nop 0
	v_bfi_b32 v5, s0, v8, v1
	v_bfi_b32 v1, s0, v1, v8
	v_pk_mul_f16 v5, v5, 0.5 op_sel_hi:[1,0]
	v_pk_mul_f16 v1, v1, 0.5 op_sel_hi:[1,0]
	s_waitcnt vmcnt(0)
	v_pk_mul_f16 v10, v0, v5 op_sel_hi:[0,1]
	v_pk_fma_f16 v8, v0, v5, v1 op_sel:[1,0,0]
	s_nop 0
	v_pk_add_f16 v11, v8, v10 op_sel:[0,1] op_sel_hi:[1,0]
	v_pk_add_f16 v8, v8, v10 op_sel:[0,1] op_sel_hi:[1,0] neg_lo:[0,1] neg_hi:[0,1]
	s_nop 0
	v_bfi_b32 v8, s0, v11, v8
	ds_write_b32 v41, v8 offset:748
	v_pk_fma_f16 v8, v0, v5, v1 op_sel:[1,0,0] neg_lo:[1,0,0] neg_hi:[1,0,0]
	v_pk_fma_f16 v0, v0, v5, v1 op_sel:[1,0,0] neg_lo:[0,0,1] neg_hi:[0,0,1]
	v_pk_add_f16 v8, v8, v10 op_sel:[0,1] op_sel_hi:[1,0] neg_lo:[0,1] neg_hi:[0,1]
	v_pk_add_f16 v0, v0, v10 op_sel:[0,1] op_sel_hi:[1,0] neg_lo:[0,1] neg_hi:[0,1]
	s_nop 0
	v_bfi_b32 v0, s0, v8, v0
	ds_write_b32 v12, v0 offset:884
	s_waitcnt lgkmcnt(0)
	; wave barrier
	s_waitcnt lgkmcnt(0)
	s_and_saveexec_b64 s[0:1], vcc
	s_cbranch_execz .LBB0_21
; %bb.19:
	v_mul_lo_u32 v5, s3, v6
	v_mad_u64_u32 v[0:1], s[0:1], s2, v6, 0
	v_lshl_add_u32 v6, v4, 2, v40
	v_mul_lo_u32 v7, s2, v7
	ds_read2_b32 v[10:11], v6 offset1:17
	v_add3_u32 v1, v1, v7, v5
	v_lshl_add_u64 v[0:1], v[0:1], 2, s[6:7]
	v_mov_b32_e32 v5, v9
	v_lshl_add_u64 v[0:1], v[2:3], 2, v[0:1]
	v_lshl_add_u64 v[2:3], v[4:5], 2, v[0:1]
	s_waitcnt lgkmcnt(0)
	global_store_dword v[2:3], v10, off
	ds_read2_b32 v[2:3], v6 offset0:34 offset1:51
	v_add_u32_e32 v8, 17, v4
	v_lshl_add_u64 v[12:13], v[8:9], 2, v[0:1]
	v_add_u32_e32 v8, 34, v4
	global_store_dword v[12:13], v11, off
	v_lshl_add_u64 v[10:11], v[8:9], 2, v[0:1]
	s_waitcnt lgkmcnt(0)
	global_store_dword v[10:11], v2, off
	ds_read2_b32 v[10:11], v6 offset0:68 offset1:85
	v_add_u32_e32 v8, 51, v4
	v_lshl_add_u64 v[12:13], v[8:9], 2, v[0:1]
	v_add_u32_e32 v8, 0x44, v4
	global_store_dword v[12:13], v3, off
	;; [unrolled: 8-line block ×7, first 2 shown]
	v_lshl_add_u64 v[10:11], v[8:9], 2, v[0:1]
	v_add_u32_e32 v5, 0x400, v6
	s_waitcnt lgkmcnt(0)
	global_store_dword v[10:11], v2, off
	ds_read2_b32 v[10:11], v5 offset0:16 offset1:33
	v_add_u32_e32 v8, 0xff, v4
	v_lshl_add_u64 v[12:13], v[8:9], 2, v[0:1]
	v_add_u32_e32 v8, 0x110, v4
	global_store_dword v[12:13], v3, off
	v_lshl_add_u64 v[2:3], v[8:9], 2, v[0:1]
	s_waitcnt lgkmcnt(0)
	global_store_dword v[2:3], v10, off
	ds_read2_b32 v[2:3], v5 offset0:50 offset1:67
	v_add_u32_e32 v8, 0x121, v4
	v_lshl_add_u64 v[12:13], v[8:9], 2, v[0:1]
	v_add_u32_e32 v8, 0x132, v4
	global_store_dword v[12:13], v11, off
	v_lshl_add_u64 v[10:11], v[8:9], 2, v[0:1]
	s_waitcnt lgkmcnt(0)
	global_store_dword v[10:11], v2, off
	ds_read2_b32 v[10:11], v5 offset0:84 offset1:101
	v_add_u32_e32 v8, 0x143, v4
	v_lshl_add_u64 v[12:13], v[8:9], 2, v[0:1]
	v_add_u32_e32 v8, 0x154, v4
	global_store_dword v[12:13], v3, off
	v_lshl_add_u64 v[2:3], v[8:9], 2, v[0:1]
	s_waitcnt lgkmcnt(0)
	global_store_dword v[2:3], v10, off
	ds_read2_b32 v[2:3], v5 offset0:118 offset1:135
	v_add_u32_e32 v8, 0x165, v4
	v_lshl_add_u64 v[12:13], v[8:9], 2, v[0:1]
	v_add_u32_e32 v8, 0x176, v4
	global_store_dword v[12:13], v11, off
	v_lshl_add_u64 v[10:11], v[8:9], 2, v[0:1]
	v_add_u32_e32 v8, 0x187, v4
	v_lshl_add_u64 v[8:9], v[8:9], 2, v[0:1]
	v_cmp_eq_u32_e32 vcc, 16, v4
	s_waitcnt lgkmcnt(0)
	global_store_dword v[10:11], v2, off
	global_store_dword v[8:9], v3, off
	s_and_b64 exec, exec, vcc
	s_cbranch_execz .LBB0_21
; %bb.20:
	ds_read_b32 v2, v6 offset:1568
	s_waitcnt lgkmcnt(0)
	global_store_dword v[0:1], v2, off offset:1632
.LBB0_21:
	s_endpgm
	.section	.rodata,"a",@progbits
	.p2align	6, 0x0
	.amdhsa_kernel fft_rtc_back_len408_factors_17_3_8_wgs_51_tpt_17_halfLds_half_op_CI_CI_unitstride_sbrr_R2C_dirReg
		.amdhsa_group_segment_fixed_size 0
		.amdhsa_private_segment_fixed_size 0
		.amdhsa_kernarg_size 104
		.amdhsa_user_sgpr_count 2
		.amdhsa_user_sgpr_dispatch_ptr 0
		.amdhsa_user_sgpr_queue_ptr 0
		.amdhsa_user_sgpr_kernarg_segment_ptr 1
		.amdhsa_user_sgpr_dispatch_id 0
		.amdhsa_user_sgpr_kernarg_preload_length 0
		.amdhsa_user_sgpr_kernarg_preload_offset 0
		.amdhsa_user_sgpr_private_segment_size 0
		.amdhsa_uses_dynamic_stack 0
		.amdhsa_enable_private_segment 0
		.amdhsa_system_sgpr_workgroup_id_x 1
		.amdhsa_system_sgpr_workgroup_id_y 0
		.amdhsa_system_sgpr_workgroup_id_z 0
		.amdhsa_system_sgpr_workgroup_info 0
		.amdhsa_system_vgpr_workitem_id 0
		.amdhsa_next_free_vgpr 147
		.amdhsa_next_free_sgpr 36
		.amdhsa_accum_offset 148
		.amdhsa_reserve_vcc 1
		.amdhsa_float_round_mode_32 0
		.amdhsa_float_round_mode_16_64 0
		.amdhsa_float_denorm_mode_32 3
		.amdhsa_float_denorm_mode_16_64 3
		.amdhsa_dx10_clamp 1
		.amdhsa_ieee_mode 1
		.amdhsa_fp16_overflow 0
		.amdhsa_tg_split 0
		.amdhsa_exception_fp_ieee_invalid_op 0
		.amdhsa_exception_fp_denorm_src 0
		.amdhsa_exception_fp_ieee_div_zero 0
		.amdhsa_exception_fp_ieee_overflow 0
		.amdhsa_exception_fp_ieee_underflow 0
		.amdhsa_exception_fp_ieee_inexact 0
		.amdhsa_exception_int_div_zero 0
	.end_amdhsa_kernel
	.text
.Lfunc_end0:
	.size	fft_rtc_back_len408_factors_17_3_8_wgs_51_tpt_17_halfLds_half_op_CI_CI_unitstride_sbrr_R2C_dirReg, .Lfunc_end0-fft_rtc_back_len408_factors_17_3_8_wgs_51_tpt_17_halfLds_half_op_CI_CI_unitstride_sbrr_R2C_dirReg
                                        ; -- End function
	.section	.AMDGPU.csdata,"",@progbits
; Kernel info:
; codeLenInByte = 18788
; NumSgprs: 42
; NumVgprs: 147
; NumAgprs: 0
; TotalNumVgprs: 147
; ScratchSize: 0
; MemoryBound: 0
; FloatMode: 240
; IeeeMode: 1
; LDSByteSize: 0 bytes/workgroup (compile time only)
; SGPRBlocks: 5
; VGPRBlocks: 18
; NumSGPRsForWavesPerEU: 42
; NumVGPRsForWavesPerEU: 147
; AccumOffset: 148
; Occupancy: 3
; WaveLimiterHint : 1
; COMPUTE_PGM_RSRC2:SCRATCH_EN: 0
; COMPUTE_PGM_RSRC2:USER_SGPR: 2
; COMPUTE_PGM_RSRC2:TRAP_HANDLER: 0
; COMPUTE_PGM_RSRC2:TGID_X_EN: 1
; COMPUTE_PGM_RSRC2:TGID_Y_EN: 0
; COMPUTE_PGM_RSRC2:TGID_Z_EN: 0
; COMPUTE_PGM_RSRC2:TIDIG_COMP_CNT: 0
; COMPUTE_PGM_RSRC3_GFX90A:ACCUM_OFFSET: 36
; COMPUTE_PGM_RSRC3_GFX90A:TG_SPLIT: 0
	.text
	.p2alignl 6, 3212836864
	.fill 256, 4, 3212836864
	.type	__hip_cuid_1a6848d43a12eabd,@object ; @__hip_cuid_1a6848d43a12eabd
	.section	.bss,"aw",@nobits
	.globl	__hip_cuid_1a6848d43a12eabd
__hip_cuid_1a6848d43a12eabd:
	.byte	0                               ; 0x0
	.size	__hip_cuid_1a6848d43a12eabd, 1

	.ident	"AMD clang version 19.0.0git (https://github.com/RadeonOpenCompute/llvm-project roc-6.4.0 25133 c7fe45cf4b819c5991fe208aaa96edf142730f1d)"
	.section	".note.GNU-stack","",@progbits
	.addrsig
	.addrsig_sym __hip_cuid_1a6848d43a12eabd
	.amdgpu_metadata
---
amdhsa.kernels:
  - .agpr_count:     0
    .args:
      - .actual_access:  read_only
        .address_space:  global
        .offset:         0
        .size:           8
        .value_kind:     global_buffer
      - .offset:         8
        .size:           8
        .value_kind:     by_value
      - .actual_access:  read_only
        .address_space:  global
        .offset:         16
        .size:           8
        .value_kind:     global_buffer
      - .actual_access:  read_only
        .address_space:  global
        .offset:         24
        .size:           8
        .value_kind:     global_buffer
      - .actual_access:  read_only
        .address_space:  global
        .offset:         32
        .size:           8
        .value_kind:     global_buffer
      - .offset:         40
        .size:           8
        .value_kind:     by_value
      - .actual_access:  read_only
        .address_space:  global
        .offset:         48
        .size:           8
        .value_kind:     global_buffer
      - .actual_access:  read_only
        .address_space:  global
        .offset:         56
        .size:           8
        .value_kind:     global_buffer
      - .offset:         64
        .size:           4
        .value_kind:     by_value
      - .actual_access:  read_only
        .address_space:  global
        .offset:         72
        .size:           8
        .value_kind:     global_buffer
      - .actual_access:  read_only
        .address_space:  global
        .offset:         80
        .size:           8
        .value_kind:     global_buffer
      - .actual_access:  read_only
        .address_space:  global
        .offset:         88
        .size:           8
        .value_kind:     global_buffer
      - .actual_access:  write_only
        .address_space:  global
        .offset:         96
        .size:           8
        .value_kind:     global_buffer
    .group_segment_fixed_size: 0
    .kernarg_segment_align: 8
    .kernarg_segment_size: 104
    .language:       OpenCL C
    .language_version:
      - 2
      - 0
    .max_flat_workgroup_size: 51
    .name:           fft_rtc_back_len408_factors_17_3_8_wgs_51_tpt_17_halfLds_half_op_CI_CI_unitstride_sbrr_R2C_dirReg
    .private_segment_fixed_size: 0
    .sgpr_count:     42
    .sgpr_spill_count: 0
    .symbol:         fft_rtc_back_len408_factors_17_3_8_wgs_51_tpt_17_halfLds_half_op_CI_CI_unitstride_sbrr_R2C_dirReg.kd
    .uniform_work_group_size: 1
    .uses_dynamic_stack: false
    .vgpr_count:     147
    .vgpr_spill_count: 0
    .wavefront_size: 64
amdhsa.target:   amdgcn-amd-amdhsa--gfx950
amdhsa.version:
  - 1
  - 2
...

	.end_amdgpu_metadata
